;; amdgpu-corpus repo=ROCm/rocFFT kind=compiled arch=gfx1100 opt=O3
	.text
	.amdgcn_target "amdgcn-amd-amdhsa--gfx1100"
	.amdhsa_code_object_version 6
	.protected	bluestein_single_fwd_len1156_dim1_dp_op_CI_CI ; -- Begin function bluestein_single_fwd_len1156_dim1_dp_op_CI_CI
	.globl	bluestein_single_fwd_len1156_dim1_dp_op_CI_CI
	.p2align	8
	.type	bluestein_single_fwd_len1156_dim1_dp_op_CI_CI,@function
bluestein_single_fwd_len1156_dim1_dp_op_CI_CI: ; @bluestein_single_fwd_len1156_dim1_dp_op_CI_CI
; %bb.0:
	s_load_b128 s[16:19], s[0:1], 0x28
	v_mul_u32_u24_e32 v1, 0x3c4, v0
	s_mov_b32 s2, exec_lo
	s_delay_alu instid0(VALU_DEP_1) | instskip(NEXT) | instid1(VALU_DEP_1)
	v_lshrrev_b32_e32 v1, 16, v1
	v_mad_u64_u32 v[20:21], null, s15, 3, v[1:2]
	v_mov_b32_e32 v21, 0
                                        ; kill: def $vgpr2 killed $sgpr0 killed $exec
	s_waitcnt lgkmcnt(0)
	s_delay_alu instid0(VALU_DEP_1)
	v_cmpx_gt_u64_e64 s[16:17], v[20:21]
	s_cbranch_execz .LBB0_18
; %bb.1:
	s_clause 0x1
	s_load_b128 s[4:7], s[0:1], 0x18
	s_load_b128 s[8:11], s[0:1], 0x0
	v_mul_lo_u16 v1, 0x44, v1
	s_mov_b32 s40, 0x7c9e640b
	s_mov_b32 s41, 0xbfeca52d
	;; [unrolled: 1-line block ×4, first 2 shown]
	v_sub_nc_u16 v172, v0, v1
	s_mov_b32 s36, 0xeb564b22
	s_mov_b32 s24, 0x923c349f
	;; [unrolled: 1-line block ×4, first 2 shown]
	v_and_b32_e32 v7, 0xffff, v172
	s_mov_b32 s34, 0xacd6c6b4
	s_mov_b32 s31, 0xbfd71e95
	;; [unrolled: 1-line block ×4, first 2 shown]
	scratch_store_b32 off, v7, off          ; 4-byte Folded Spill
	s_mov_b32 s25, 0xbfeec746
	s_mov_b32 s27, 0xbfe9895b
	s_waitcnt lgkmcnt(0)
	s_load_b128 s[12:15], s[4:5], 0x0
	s_mov_b32 s29, 0xbfe0d888
	s_mov_b32 s35, 0xbfc7851a
	;; [unrolled: 1-line block ×19, first 2 shown]
	s_waitcnt lgkmcnt(0)
	v_mad_u64_u32 v[0:1], null, s14, v20, 0
	v_mad_u64_u32 v[2:3], null, s12, v7, 0
	s_mul_i32 s2, s13, 0x440
	s_mul_hi_u32 s4, s12, 0x440
	s_mul_i32 s3, s12, 0x440
	s_add_i32 s2, s4, s2
	s_mov_b32 s52, s26
	v_lshlrev_b32_e32 v246, 4, v7
	s_delay_alu instid0(VALU_DEP_2) | instskip(SKIP_2) | instid1(VALU_DEP_2)
	v_mad_u64_u32 v[4:5], null, s15, v20, v[1:2]
	s_mov_b32 s14, 0xc61f0d01
	s_mov_b32 s15, 0xbfd183b1
	v_add_co_u32 v244, s4, s8, v246
	s_delay_alu instid0(VALU_DEP_1) | instskip(NEXT) | instid1(VALU_DEP_3)
	v_add_co_ci_u32_e64 v245, null, s9, 0, s4
	v_mad_u64_u32 v[5:6], null, s13, v7, v[3:4]
	v_mov_b32_e32 v1, v4
	s_mov_b32 s12, 0x6ed5f1bb
	s_mov_b32 s13, 0xbfe348c8
	s_delay_alu instid0(VALU_DEP_1) | instskip(NEXT) | instid1(VALU_DEP_3)
	v_lshlrev_b64 v[0:1], 4, v[0:1]
	v_mov_b32_e32 v3, v5
	s_delay_alu instid0(VALU_DEP_2) | instskip(NEXT) | instid1(VALU_DEP_2)
	v_add_co_u32 v0, vcc_lo, s18, v0
	v_lshlrev_b64 v[2:3], 4, v[2:3]
	s_delay_alu instid0(VALU_DEP_4) | instskip(SKIP_2) | instid1(VALU_DEP_2)
	v_add_co_ci_u32_e32 v1, vcc_lo, s19, v1, vcc_lo
	s_mov_b32 s18, 0x2b2883cd
	s_mov_b32 s19, 0x3fdc86fa
	v_add_co_u32 v4, vcc_lo, v0, v2
	s_delay_alu instid0(VALU_DEP_2)
	v_add_co_ci_u32_e32 v5, vcc_lo, v1, v3, vcc_lo
	global_load_b128 v[21:24], v246, s[8:9]
	global_load_b128 v[0:3], v[4:5], off
	v_add_co_u32 v8, vcc_lo, v4, s3
	v_add_co_ci_u32_e32 v9, vcc_lo, s2, v5, vcc_lo
	global_load_b128 v[25:28], v246, s[8:9] offset:1088
	global_load_b128 v[4:7], v[8:9], off
	v_add_co_u32 v12, vcc_lo, v8, s3
	v_add_co_ci_u32_e32 v13, vcc_lo, s2, v9, vcc_lo
	global_load_b128 v[29:32], v246, s[8:9] offset:2176
	global_load_b128 v[8:11], v[12:13], off
	s_waitcnt vmcnt(5)
	scratch_store_b128 off, v[21:24], off offset:4 ; 16-byte Folded Spill
	s_waitcnt vmcnt(4)
	v_mul_f64 v[14:15], v[2:3], v[23:24]
	v_mul_f64 v[16:17], v[0:1], v[23:24]
	s_waitcnt vmcnt(3)
	scratch_store_b128 off, v[25:28], off offset:20 ; 16-byte Folded Spill
	s_waitcnt vmcnt(1)
	scratch_store_b128 off, v[29:32], off offset:36 ; 16-byte Folded Spill
	v_fma_f64 v[68:69], v[0:1], v[21:22], v[14:15]
	v_fma_f64 v[70:71], v[2:3], v[21:22], -v[16:17]
	v_mul_f64 v[0:1], v[6:7], v[27:28]
	v_mul_f64 v[2:3], v[4:5], v[27:28]
	s_delay_alu instid0(VALU_DEP_2) | instskip(NEXT) | instid1(VALU_DEP_2)
	v_fma_f64 v[72:73], v[4:5], v[25:26], v[0:1]
	v_fma_f64 v[74:75], v[6:7], v[25:26], -v[2:3]
	s_waitcnt vmcnt(0)
	v_mul_f64 v[0:1], v[10:11], v[31:32]
	v_mul_f64 v[2:3], v[8:9], v[31:32]
	v_add_co_u32 v4, vcc_lo, v12, s3
	v_add_co_ci_u32_e32 v5, vcc_lo, s2, v13, vcc_lo
	s_delay_alu instid0(VALU_DEP_4) | instskip(NEXT) | instid1(VALU_DEP_4)
	v_fma_f64 v[76:77], v[8:9], v[29:30], v[0:1]
	v_fma_f64 v[78:79], v[10:11], v[29:30], -v[2:3]
	global_load_b128 v[10:13], v246, s[8:9] offset:3264
	global_load_b128 v[0:3], v[4:5], off
	v_add_co_u32 v4, vcc_lo, v4, s3
	v_add_co_ci_u32_e32 v5, vcc_lo, s2, v5, vcc_lo
	s_mov_b32 s8, 0x910ea3b9
	s_mov_b32 s9, 0xbfeb34fa
	s_waitcnt vmcnt(1)
	scratch_store_b128 off, v[10:13], off offset:52 ; 16-byte Folded Spill
	s_waitcnt vmcnt(0)
	v_mul_f64 v[6:7], v[2:3], v[12:13]
	v_mul_f64 v[8:9], v[0:1], v[12:13]
	s_delay_alu instid0(VALU_DEP_2) | instskip(SKIP_2) | instid1(VALU_DEP_4)
	v_fma_f64 v[80:81], v[0:1], v[10:11], v[6:7]
	v_add_co_u32 v6, vcc_lo, 0x1000, v244
	v_add_co_ci_u32_e32 v7, vcc_lo, 0, v245, vcc_lo
	v_fma_f64 v[82:83], v[2:3], v[10:11], -v[8:9]
	global_load_b128 v[12:15], v[6:7], off offset:256
	global_load_b128 v[0:3], v[4:5], off
	v_add_co_u32 v4, vcc_lo, v4, s3
	v_add_co_ci_u32_e32 v5, vcc_lo, s2, v5, vcc_lo
	s_waitcnt vmcnt(1)
	scratch_store_b128 off, v[12:15], off offset:100 ; 16-byte Folded Spill
	s_waitcnt vmcnt(0)
	v_mul_f64 v[8:9], v[2:3], v[14:15]
	v_mul_f64 v[10:11], v[0:1], v[14:15]
	s_delay_alu instid0(VALU_DEP_2) | instskip(NEXT) | instid1(VALU_DEP_2)
	v_fma_f64 v[84:85], v[0:1], v[12:13], v[8:9]
	v_fma_f64 v[86:87], v[2:3], v[12:13], -v[10:11]
	global_load_b128 v[12:15], v[6:7], off offset:1344
	global_load_b128 v[0:3], v[4:5], off
	v_add_co_u32 v4, vcc_lo, v4, s3
	v_add_co_ci_u32_e32 v5, vcc_lo, s2, v5, vcc_lo
	s_waitcnt vmcnt(1)
	scratch_store_b128 off, v[12:15], off offset:116 ; 16-byte Folded Spill
	s_waitcnt vmcnt(0)
	v_mul_f64 v[8:9], v[2:3], v[14:15]
	v_mul_f64 v[10:11], v[0:1], v[14:15]
	s_delay_alu instid0(VALU_DEP_2) | instskip(NEXT) | instid1(VALU_DEP_2)
	v_fma_f64 v[88:89], v[0:1], v[12:13], v[8:9]
	;; [unrolled: 12-line block ×3, first 2 shown]
	v_fma_f64 v[94:95], v[2:3], v[12:13], -v[10:11]
	global_load_b128 v[10:13], v[6:7], off offset:3520
	global_load_b128 v[0:3], v[4:5], off
	s_waitcnt vmcnt(1)
	scratch_store_b128 off, v[10:13], off offset:84 ; 16-byte Folded Spill
	s_waitcnt vmcnt(0)
	v_mul_f64 v[8:9], v[0:1], v[12:13]
	v_mul_f64 v[6:7], v[2:3], v[12:13]
	s_delay_alu instid0(VALU_DEP_2)
	v_fma_f64 v[98:99], v[2:3], v[10:11], -v[8:9]
	v_add_co_u32 v8, vcc_lo, v4, s3
	v_add_co_ci_u32_e32 v9, vcc_lo, s2, v5, vcc_lo
	v_add_co_u32 v16, vcc_lo, 0x2000, v244
	v_add_co_ci_u32_e32 v17, vcc_lo, 0, v245, vcc_lo
	v_fma_f64 v[96:97], v[0:1], v[10:11], v[6:7]
	global_load_b128 v[10:13], v[16:17], off offset:512
	global_load_b128 v[0:3], v[8:9], off
	s_waitcnt vmcnt(1)
	scratch_store_b128 off, v[10:13], off offset:132 ; 16-byte Folded Spill
	s_waitcnt vmcnt(0)
	v_mul_f64 v[4:5], v[2:3], v[12:13]
	v_mul_f64 v[6:7], v[0:1], v[12:13]
	v_add_co_u32 v12, vcc_lo, v8, s3
	v_add_co_ci_u32_e32 v13, vcc_lo, s2, v9, vcc_lo
	s_delay_alu instid0(VALU_DEP_2) | instskip(NEXT) | instid1(VALU_DEP_2)
	v_add_co_u32 v18, vcc_lo, v12, s3
	v_add_co_ci_u32_e32 v19, vcc_lo, s2, v13, vcc_lo
	v_fma_f64 v[4:5], v[0:1], v[10:11], v[4:5]
	v_fma_f64 v[6:7], v[2:3], v[10:11], -v[6:7]
	global_load_b128 v[21:24], v[16:17], off offset:1600
	global_load_b128 v[0:3], v[12:13], off
	s_waitcnt vmcnt(1)
	scratch_store_b128 off, v[21:24], off offset:148 ; 16-byte Folded Spill
	s_waitcnt vmcnt(0)
	v_mul_f64 v[8:9], v[2:3], v[23:24]
	v_mul_f64 v[10:11], v[0:1], v[23:24]
	s_delay_alu instid0(VALU_DEP_2) | instskip(NEXT) | instid1(VALU_DEP_2)
	v_fma_f64 v[8:9], v[0:1], v[21:22], v[8:9]
	v_fma_f64 v[10:11], v[2:3], v[21:22], -v[10:11]
	global_load_b128 v[21:24], v[16:17], off offset:2688
	global_load_b128 v[0:3], v[18:19], off
	s_waitcnt vmcnt(1)
	scratch_store_b128 off, v[21:24], off offset:164 ; 16-byte Folded Spill
	s_waitcnt vmcnt(0)
	v_mul_f64 v[12:13], v[2:3], v[23:24]
	v_mul_f64 v[14:15], v[0:1], v[23:24]
	s_delay_alu instid0(VALU_DEP_2) | instskip(NEXT) | instid1(VALU_DEP_2)
	v_fma_f64 v[12:13], v[0:1], v[21:22], v[12:13]
	v_fma_f64 v[14:15], v[2:3], v[21:22], -v[14:15]
	v_add_co_u32 v21, vcc_lo, v18, s3
	v_add_co_ci_u32_e32 v22, vcc_lo, s2, v19, vcc_lo
	global_load_b128 v[23:26], v[16:17], off offset:3776
	global_load_b128 v[0:3], v[21:22], off
	s_waitcnt vmcnt(1)
	scratch_store_b128 off, v[23:26], off offset:180 ; 16-byte Folded Spill
	s_waitcnt vmcnt(0)
	v_mul_f64 v[16:17], v[2:3], v[25:26]
	v_mul_f64 v[18:19], v[0:1], v[25:26]
	v_add_co_u32 v25, vcc_lo, v21, s3
	v_add_co_ci_u32_e32 v26, vcc_lo, s2, v22, vcc_lo
	v_add_co_u32 v33, vcc_lo, 0x3000, v244
	v_add_co_ci_u32_e32 v34, vcc_lo, 0, v245, vcc_lo
	v_fma_f64 v[16:17], v[0:1], v[23:24], v[16:17]
	v_fma_f64 v[18:19], v[2:3], v[23:24], -v[18:19]
	global_load_b128 v[27:30], v[33:34], off offset:768
	global_load_b128 v[0:3], v[25:26], off
	s_waitcnt vmcnt(1)
	scratch_store_b128 off, v[27:30], off offset:196 ; 16-byte Folded Spill
	s_waitcnt vmcnt(0)
	v_mul_f64 v[21:22], v[2:3], v[29:30]
	v_mul_f64 v[23:24], v[0:1], v[29:30]
	v_add_co_u32 v29, vcc_lo, v25, s3
	v_add_co_ci_u32_e32 v30, vcc_lo, s2, v26, vcc_lo
	s_delay_alu instid0(VALU_DEP_4) | instskip(NEXT) | instid1(VALU_DEP_4)
	v_fma_f64 v[21:22], v[0:1], v[27:28], v[21:22]
	v_fma_f64 v[23:24], v[2:3], v[27:28], -v[23:24]
	global_load_b128 v[35:38], v[33:34], off offset:1856
	global_load_b128 v[0:3], v[29:30], off
	s_waitcnt vmcnt(1)
	scratch_store_b128 off, v[35:38], off offset:212 ; 16-byte Folded Spill
	s_waitcnt vmcnt(0)
	v_mul_f64 v[25:26], v[2:3], v[37:38]
	v_mul_f64 v[27:28], v[0:1], v[37:38]
	s_delay_alu instid0(VALU_DEP_2) | instskip(NEXT) | instid1(VALU_DEP_2)
	v_fma_f64 v[25:26], v[0:1], v[35:36], v[25:26]
	v_fma_f64 v[27:28], v[2:3], v[35:36], -v[27:28]
	v_add_co_u32 v35, vcc_lo, v29, s3
	v_add_co_ci_u32_e32 v36, vcc_lo, s2, v30, vcc_lo
	global_load_b128 v[37:40], v[33:34], off offset:2944
	global_load_b128 v[0:3], v[35:36], off
	s_waitcnt vmcnt(1)
	scratch_store_b128 off, v[37:40], off offset:228 ; 16-byte Folded Spill
	s_waitcnt vmcnt(0)
	v_mul_f64 v[29:30], v[2:3], v[39:40]
	v_mul_f64 v[31:32], v[0:1], v[39:40]
	s_delay_alu instid0(VALU_DEP_2) | instskip(NEXT) | instid1(VALU_DEP_2)
	v_fma_f64 v[29:30], v[0:1], v[37:38], v[29:30]
	v_fma_f64 v[31:32], v[2:3], v[37:38], -v[31:32]
	v_add_co_u32 v37, vcc_lo, v35, s3
	v_add_co_ci_u32_e32 v38, vcc_lo, s2, v36, vcc_lo
	global_load_b128 v[39:42], v[33:34], off offset:4032
	global_load_b128 v[0:3], v[37:38], off
	s_waitcnt vmcnt(1)
	scratch_store_b128 off, v[39:42], off offset:244 ; 16-byte Folded Spill
	s_waitcnt vmcnt(0)
	v_mul_f64 v[35:36], v[0:1], v[41:42]
	v_mul_f64 v[33:34], v[2:3], v[41:42]
	s_delay_alu instid0(VALU_DEP_2) | instskip(SKIP_2) | instid1(VALU_DEP_4)
	v_fma_f64 v[35:36], v[2:3], v[39:40], -v[35:36]
	v_add_co_u32 v2, vcc_lo, v37, s3
	v_add_co_ci_u32_e32 v3, vcc_lo, s2, v38, vcc_lo
	v_fma_f64 v[33:34], v[0:1], v[39:40], v[33:34]
	v_add_co_u32 v0, vcc_lo, 0x4000, v244
	v_add_co_ci_u32_e32 v1, vcc_lo, 0, v245, vcc_lo
	global_load_b128 v[37:40], v[2:3], off
	global_load_b128 v[43:46], v[0:1], off offset:1024
	s_mov_b32 s2, 0x7faef3
	s_mov_b32 s3, 0xbfef7484
	v_cmp_gt_u16_e64 vcc_lo, 34, v172
	s_waitcnt vmcnt(0)
	v_mul_f64 v[2:3], v[39:40], v[45:46]
	v_mul_f64 v[41:42], v[37:38], v[45:46]
	scratch_store_b128 off, v[43:46], off offset:260 ; 16-byte Folded Spill
	v_fma_f64 v[37:38], v[37:38], v[43:44], v[2:3]
	v_mul_hi_u32 v2, 0xaaaaaaab, v20
	v_fma_f64 v[39:40], v[39:40], v[43:44], -v[41:42]
	s_delay_alu instid0(VALU_DEP_2) | instskip(NEXT) | instid1(VALU_DEP_1)
	v_lshrrev_b32_e32 v2, 1, v2
	v_lshl_add_u32 v2, v2, 1, v2
	s_delay_alu instid0(VALU_DEP_1) | instskip(NEXT) | instid1(VALU_DEP_1)
	v_sub_nc_u32_e32 v2, v20, v2
	v_mul_u32_u24_e32 v2, 0x484, v2
	s_delay_alu instid0(VALU_DEP_1) | instskip(NEXT) | instid1(VALU_DEP_1)
	v_lshlrev_b32_e32 v187, 4, v2
	v_add_nc_u32_e32 v67, v246, v187
	ds_store_b128 v67, v[68:71]
	ds_store_b128 v67, v[72:75] offset:1088
	ds_store_b128 v67, v[76:79] offset:2176
	;; [unrolled: 1-line block ×16, first 2 shown]
	s_load_b128 s[4:7], s[6:7], 0x0
	s_waitcnt lgkmcnt(0)
	s_waitcnt_vscnt null, 0x0
	s_barrier
	buffer_gl0_inv
	ds_load_b128 v[68:71], v67
	ds_load_b128 v[72:75], v67 offset:1088
	ds_load_b128 v[76:79], v67 offset:2176
	;; [unrolled: 1-line block ×10, first 2 shown]
	s_waitcnt lgkmcnt(9)
	v_add_f64 v[2:3], v[68:69], v[72:73]
	v_add_f64 v[4:5], v[70:71], v[74:75]
	s_waitcnt lgkmcnt(1)
	v_add_f64 v[112:113], v[100:101], -v[104:105]
	s_waitcnt lgkmcnt(0)
	v_add_f64 v[130:131], v[98:99], -v[12:13]
	v_add_f64 v[128:129], v[96:97], -v[10:11]
	;; [unrolled: 1-line block ×3, first 2 shown]
	v_add_f64 v[2:3], v[2:3], v[76:77]
	v_add_f64 v[4:5], v[4:5], v[78:79]
	v_mul_f64 v[170:171], v[112:113], s[34:35]
	v_mul_f64 v[181:182], v[130:131], s[42:43]
	;; [unrolled: 1-line block ×5, first 2 shown]
	v_add_f64 v[2:3], v[2:3], v[80:81]
	v_add_f64 v[4:5], v[4:5], v[82:83]
	s_delay_alu instid0(VALU_DEP_2) | instskip(NEXT) | instid1(VALU_DEP_2)
	v_add_f64 v[2:3], v[2:3], v[84:85]
	v_add_f64 v[4:5], v[4:5], v[86:87]
	s_delay_alu instid0(VALU_DEP_2) | instskip(NEXT) | instid1(VALU_DEP_2)
	v_add_f64 v[2:3], v[2:3], v[88:89]
	v_add_f64 v[4:5], v[4:5], v[90:91]
	s_delay_alu instid0(VALU_DEP_2) | instskip(NEXT) | instid1(VALU_DEP_2)
	v_add_f64 v[2:3], v[2:3], v[92:93]
	v_add_f64 v[4:5], v[4:5], v[94:95]
	s_delay_alu instid0(VALU_DEP_2) | instskip(NEXT) | instid1(VALU_DEP_2)
	v_add_f64 v[2:3], v[2:3], v[96:97]
	v_add_f64 v[4:5], v[4:5], v[98:99]
	s_delay_alu instid0(VALU_DEP_2) | instskip(NEXT) | instid1(VALU_DEP_2)
	v_add_f64 v[6:7], v[2:3], v[100:101]
	v_add_f64 v[8:9], v[4:5], v[102:103]
	;; [unrolled: 1-line block ×4, first 2 shown]
	s_delay_alu instid0(VALU_DEP_4) | instskip(NEXT) | instid1(VALU_DEP_4)
	v_add_f64 v[14:15], v[6:7], v[104:105]
	v_add_f64 v[16:17], v[8:9], v[106:107]
	;; [unrolled: 1-line block ×4, first 2 shown]
	s_delay_alu instid0(VALU_DEP_4) | instskip(NEXT) | instid1(VALU_DEP_4)
	v_add_f64 v[18:19], v[14:15], v[10:11]
	v_add_f64 v[21:22], v[16:17], v[12:13]
	ds_load_b128 v[14:17], v67 offset:11968
	s_waitcnt lgkmcnt(0)
	v_add_f64 v[12:13], v[94:95], v[16:17]
	v_add_f64 v[134:135], v[94:95], -v[16:17]
	v_add_f64 v[10:11], v[92:93], v[14:15]
	v_add_f64 v[132:133], v[92:93], -v[14:15]
	v_add_f64 v[18:19], v[18:19], v[14:15]
	v_add_f64 v[25:26], v[21:22], v[16:17]
	ds_load_b128 v[21:24], v67 offset:13056
	s_waitcnt lgkmcnt(0)
	v_add_f64 v[16:17], v[90:91], v[23:24]
	v_add_f64 v[138:139], v[90:91], -v[23:24]
	v_add_f64 v[14:15], v[88:89], v[21:22]
	v_add_f64 v[136:137], v[88:89], -v[21:22]
	v_mul_f64 v[177:178], v[134:135], s[48:49]
	v_mul_f64 v[179:180], v[132:133], s[48:49]
	v_add_f64 v[27:28], v[18:19], v[21:22]
	v_add_f64 v[29:30], v[25:26], v[23:24]
	ds_load_b128 v[23:26], v67 offset:14144
	s_waitcnt lgkmcnt(0)
	v_add_f64 v[18:19], v[84:85], v[23:24]
	v_add_f64 v[21:22], v[86:87], v[25:26]
	v_add_f64 v[140:141], v[84:85], -v[23:24]
	v_add_f64 v[142:143], v[86:87], -v[25:26]
	v_mul_f64 v[173:174], v[138:139], s[50:51]
	v_mul_f64 v[175:176], v[136:137], s[50:51]
	v_add_f64 v[31:32], v[27:28], v[23:24]
	v_add_f64 v[33:34], v[29:30], v[25:26]
	ds_load_b128 v[27:30], v67 offset:15232
	s_waitcnt lgkmcnt(0)
	v_add_f64 v[23:24], v[80:81], v[27:28]
	v_add_f64 v[25:26], v[82:83], v[29:30]
	v_add_f64 v[144:145], v[80:81], -v[27:28]
	v_add_f64 v[146:147], v[82:83], -v[29:30]
	v_add_f64 v[35:36], v[31:32], v[27:28]
	v_add_f64 v[37:38], v[33:34], v[29:30]
	ds_load_b128 v[31:34], v67 offset:16320
	s_waitcnt lgkmcnt(0)
	v_add_f64 v[27:28], v[76:77], v[31:32]
	v_add_f64 v[29:30], v[78:79], v[33:34]
	v_add_f64 v[148:149], v[76:77], -v[31:32]
	v_add_f64 v[150:151], v[78:79], -v[33:34]
	v_add_f64 v[35:36], v[35:36], v[31:32]
	v_add_f64 v[37:38], v[37:38], v[33:34]
	ds_load_b128 v[31:34], v67 offset:17408
	s_waitcnt lgkmcnt(0)
	s_barrier
	buffer_gl0_inv
	v_add_f64 v[39:40], v[74:75], -v[33:34]
	v_add_f64 v[41:42], v[72:73], v[31:32]
	v_add_f64 v[45:46], v[72:73], -v[31:32]
	v_add_f64 v[43:44], v[74:75], v[33:34]
	v_add_f64 v[72:73], v[35:36], v[31:32]
	v_add_f64 v[74:75], v[37:38], v[33:34]
	v_mul_f64 v[35:36], v[39:40], s[40:41]
	v_mul_f64 v[31:32], v[39:40], s[30:31]
	;; [unrolled: 1-line block ×12, first 2 shown]
	v_fma_f64 v[59:60], v[41:42], s[18:19], -v[35:36]
	v_fma_f64 v[35:36], v[41:42], s[18:19], v[35:36]
	v_fma_f64 v[53:54], v[41:42], s[22:23], -v[31:32]
	v_fma_f64 v[31:32], v[41:42], s[22:23], v[31:32]
	;; [unrolled: 2-line block ×8, first 2 shown]
	v_mul_f64 v[41:42], v[45:46], s[38:39]
	v_fma_f64 v[94:95], v[43:44], s[16:17], v[61:62]
	v_fma_f64 v[100:101], v[43:44], s[16:17], -v[61:62]
	v_mul_f64 v[33:34], v[45:46], s[30:31]
	v_fma_f64 v[108:109], v[43:44], s[12:13], v[65:66]
	v_fma_f64 v[110:111], v[43:44], s[12:13], -v[65:66]
	v_fma_f64 v[114:115], v[43:44], s[8:9], v[76:77]
	v_fma_f64 v[116:117], v[43:44], s[8:9], -v[76:77]
	v_mul_f64 v[51:52], v[45:46], s[40:41]
	v_mul_f64 v[45:46], v[45:46], s[34:35]
	v_fma_f64 v[104:105], v[43:44], s[14:15], v[63:64]
	v_fma_f64 v[106:107], v[43:44], s[14:15], -v[63:64]
	v_add_f64 v[86:87], v[68:69], v[59:60]
	v_add_f64 v[61:62], v[68:69], v[35:36]
	v_mul_f64 v[35:36], v[150:151], s[38:39]
	v_add_f64 v[122:123], v[68:69], v[53:54]
	v_add_f64 v[65:66], v[68:69], v[55:56]
	v_add_f64 v[31:32], v[68:69], v[31:32]
	v_add_f64 v[102:103], v[68:69], v[82:83]
	v_add_f64 v[53:54], v[68:69], v[47:48]
	v_add_f64 v[166:167], v[68:69], v[88:89]
	v_add_f64 v[162:163], v[68:69], v[49:50]
	v_add_f64 v[49:50], v[68:69], v[90:91]
	v_mul_f64 v[88:89], v[150:151], s[36:37]
	v_add_f64 v[158:159], v[68:69], v[98:99]
	v_add_f64 v[154:155], v[68:69], v[39:40]
	v_fma_f64 v[84:85], v[43:44], s[20:21], v[41:42]
	v_fma_f64 v[41:42], v[43:44], s[20:21], -v[41:42]
	v_add_f64 v[55:56], v[70:71], v[94:95]
	v_add_f64 v[94:95], v[68:69], v[37:38]
	v_fma_f64 v[78:79], v[43:44], s[22:23], v[33:34]
	v_fma_f64 v[33:34], v[43:44], s[22:23], -v[33:34]
	;; [unrolled: 4-line block ×3, first 2 shown]
	v_fma_f64 v[118:119], v[43:44], s[2:3], v[45:46]
	v_fma_f64 v[120:121], v[43:44], s[2:3], -v[45:46]
	v_add_f64 v[45:46], v[68:69], v[96:97]
	v_add_f64 v[47:48], v[70:71], v[114:115]
	;; [unrolled: 1-line block ×3, first 2 shown]
	v_mul_f64 v[114:115], v[138:139], s[24:25]
	v_mul_f64 v[116:117], v[136:137], s[24:25]
	;; [unrolled: 1-line block ×7, first 2 shown]
	v_fma_f64 v[37:38], v[27:28], s[20:21], -v[35:36]
	v_add_f64 v[63:64], v[70:71], v[84:85]
	v_add_f64 v[76:77], v[70:71], v[41:42]
	;; [unrolled: 1-line block ×13, first 2 shown]
	v_mul_f64 v[104:105], v[142:143], s[36:37]
	v_mul_f64 v[106:107], v[140:141], s[36:37]
	v_mul_f64 v[118:119], v[134:135], s[26:27]
	v_mul_f64 v[120:121], v[132:133], s[26:27]
	v_add_f64 v[41:42], v[37:38], v[122:123]
	v_mul_f64 v[37:38], v[148:149], s[38:39]
	v_mul_f64 v[122:123], v[130:131], s[28:29]
	s_delay_alu instid0(VALU_DEP_2) | instskip(NEXT) | instid1(VALU_DEP_1)
	v_fma_f64 v[39:40], v[29:30], s[20:21], v[37:38]
	v_add_f64 v[68:69], v[39:40], v[124:125]
	v_mul_f64 v[39:40], v[146:147], s[40:41]
	v_mul_f64 v[124:125], v[128:129], s[28:29]
	s_delay_alu instid0(VALU_DEP_2) | instskip(NEXT) | instid1(VALU_DEP_1)
	v_fma_f64 v[70:71], v[23:24], s[18:19], -v[39:40]
	v_add_f64 v[70:71], v[70:71], v[41:42]
	v_mul_f64 v[41:42], v[144:145], s[40:41]
	s_delay_alu instid0(VALU_DEP_1) | instskip(NEXT) | instid1(VALU_DEP_1)
	v_fma_f64 v[80:81], v[25:26], s[18:19], v[41:42]
	v_add_f64 v[68:69], v[80:81], v[68:69]
	v_fma_f64 v[80:81], v[18:19], s[16:17], -v[104:105]
	s_delay_alu instid0(VALU_DEP_1) | instskip(SKIP_1) | instid1(VALU_DEP_1)
	v_add_f64 v[70:71], v[80:81], v[70:71]
	v_fma_f64 v[80:81], v[21:22], s[16:17], v[106:107]
	v_add_f64 v[68:69], v[80:81], v[68:69]
	v_fma_f64 v[80:81], v[14:15], s[14:15], -v[114:115]
	s_delay_alu instid0(VALU_DEP_1) | instskip(SKIP_1) | instid1(VALU_DEP_1)
	v_add_f64 v[70:71], v[80:81], v[70:71]
	;; [unrolled: 5-line block ×12, first 2 shown]
	v_mul_f64 v[65:66], v[112:113], s[44:45]
	v_fma_f64 v[82:83], v[4:5], s[22:23], v[65:66]
	v_fma_f64 v[65:66], v[4:5], s[22:23], -v[65:66]
	s_delay_alu instid0(VALU_DEP_2) | instskip(SKIP_1) | instid1(VALU_DEP_1)
	v_add_f64 v[82:83], v[82:83], v[63:64]
	v_fma_f64 v[63:64], v[27:28], s[16:17], v[88:89]
	v_add_f64 v[63:64], v[63:64], v[78:79]
	v_fma_f64 v[78:79], v[29:30], s[16:17], -v[90:91]
	s_delay_alu instid0(VALU_DEP_1) | instskip(SKIP_2) | instid1(VALU_DEP_2)
	v_add_f64 v[76:77], v[78:79], v[76:77]
	v_fma_f64 v[78:79], v[23:24], s[12:13], v[96:97]
	v_mul_f64 v[96:97], v[146:147], s[46:47]
	v_add_f64 v[63:64], v[78:79], v[63:64]
	v_fma_f64 v[78:79], v[25:26], s[12:13], -v[98:99]
	v_mul_f64 v[98:99], v[144:145], s[46:47]
	s_mov_b32 s47, 0x3fe58eea
	s_mov_b32 s46, s38
	s_delay_alu instid0(VALU_DEP_2) | instskip(SKIP_2) | instid1(VALU_DEP_2)
	v_add_f64 v[76:77], v[78:79], v[76:77]
	v_fma_f64 v[78:79], v[18:19], s[2:3], v[108:109]
	v_mul_f64 v[108:109], v[142:143], s[48:49]
	v_add_f64 v[63:64], v[78:79], v[63:64]
	v_fma_f64 v[78:79], v[21:22], s[2:3], -v[110:111]
	v_mul_f64 v[110:111], v[140:141], s[48:49]
	s_delay_alu instid0(VALU_DEP_2) | instskip(SKIP_2) | instid1(VALU_DEP_2)
	v_add_f64 v[76:77], v[78:79], v[76:77]
	v_fma_f64 v[78:79], v[14:15], s[8:9], v[173:174]
	v_mul_f64 v[173:174], v[138:139], s[46:47]
	v_add_f64 v[63:64], v[78:79], v[63:64]
	v_fma_f64 v[78:79], v[16:17], s[8:9], -v[175:176]
	v_mul_f64 v[175:176], v[136:137], s[46:47]
	;; [unrolled: 7-line block ×4, first 2 shown]
	s_delay_alu instid0(VALU_DEP_2) | instskip(SKIP_2) | instid1(VALU_DEP_3)
	v_add_f64 v[78:79], v[78:79], v[76:77]
	v_fma_f64 v[76:77], v[2:3], s[22:23], v[185:186]
	v_mul_f64 v[185:186], v[126:127], s[28:29]
	v_add_f64 v[78:79], v[65:66], v[78:79]
	s_delay_alu instid0(VALU_DEP_3) | instskip(SKIP_1) | instid1(VALU_DEP_1)
	v_add_f64 v[76:77], v[76:77], v[63:64]
	v_mul_f64 v[63:64], v[150:151], s[26:27]
	v_fma_f64 v[65:66], v[27:28], s[12:13], -v[63:64]
	v_fma_f64 v[63:64], v[27:28], s[12:13], v[63:64]
	s_delay_alu instid0(VALU_DEP_2) | instskip(SKIP_1) | instid1(VALU_DEP_3)
	v_add_f64 v[65:66], v[65:66], v[86:87]
	v_mul_f64 v[86:87], v[148:149], s[26:27]
	v_add_f64 v[61:62], v[63:64], v[61:62]
	s_delay_alu instid0(VALU_DEP_2) | instskip(SKIP_1) | instid1(VALU_DEP_2)
	v_fma_f64 v[88:89], v[29:30], s[12:13], v[86:87]
	v_fma_f64 v[63:64], v[29:30], s[12:13], -v[86:87]
	v_add_f64 v[84:85], v[88:89], v[84:85]
	v_fma_f64 v[88:89], v[23:24], s[2:3], -v[96:97]
	s_delay_alu instid0(VALU_DEP_3) | instskip(SKIP_1) | instid1(VALU_DEP_3)
	v_add_f64 v[59:60], v[63:64], v[59:60]
	v_fma_f64 v[63:64], v[23:24], s[2:3], v[96:97]
	v_add_f64 v[65:66], v[88:89], v[65:66]
	v_fma_f64 v[88:89], v[25:26], s[2:3], v[98:99]
	s_delay_alu instid0(VALU_DEP_3) | instskip(SKIP_1) | instid1(VALU_DEP_3)
	v_add_f64 v[61:62], v[63:64], v[61:62]
	v_fma_f64 v[63:64], v[25:26], s[2:3], -v[98:99]
	v_add_f64 v[84:85], v[88:89], v[84:85]
	v_fma_f64 v[88:89], v[18:19], s[14:15], -v[108:109]
	s_delay_alu instid0(VALU_DEP_3) | instskip(SKIP_2) | instid1(VALU_DEP_4)
	v_add_f64 v[59:60], v[63:64], v[59:60]
	v_fma_f64 v[63:64], v[18:19], s[14:15], v[108:109]
	v_mul_f64 v[108:109], v[142:143], s[44:45]
	v_add_f64 v[65:66], v[88:89], v[65:66]
	v_fma_f64 v[88:89], v[21:22], s[14:15], v[110:111]
	s_delay_alu instid0(VALU_DEP_4) | instskip(SKIP_2) | instid1(VALU_DEP_4)
	v_add_f64 v[61:62], v[63:64], v[61:62]
	v_fma_f64 v[63:64], v[21:22], s[14:15], -v[110:111]
	v_mul_f64 v[110:111], v[140:141], s[44:45]
	v_add_f64 v[84:85], v[88:89], v[84:85]
	v_fma_f64 v[88:89], v[14:15], s[20:21], -v[173:174]
	s_delay_alu instid0(VALU_DEP_4) | instskip(SKIP_2) | instid1(VALU_DEP_4)
	v_add_f64 v[59:60], v[63:64], v[59:60]
	v_fma_f64 v[63:64], v[14:15], s[20:21], v[173:174]
	v_mul_f64 v[173:174], v[138:139], s[40:41]
	v_add_f64 v[65:66], v[88:89], v[65:66]
	v_fma_f64 v[88:89], v[16:17], s[20:21], v[175:176]
	s_delay_alu instid0(VALU_DEP_4) | instskip(SKIP_2) | instid1(VALU_DEP_4)
	v_add_f64 v[61:62], v[63:64], v[61:62]
	v_fma_f64 v[63:64], v[16:17], s[20:21], -v[175:176]
	v_mul_f64 v[175:176], v[136:137], s[40:41]
	v_add_f64 v[84:85], v[88:89], v[84:85]
	v_fma_f64 v[88:89], v[10:11], s[22:23], -v[177:178]
	s_delay_alu instid0(VALU_DEP_4) | instskip(SKIP_2) | instid1(VALU_DEP_4)
	;; [unrolled: 12-line block ×4, first 2 shown]
	v_add_f64 v[59:60], v[63:64], v[59:60]
	v_fma_f64 v[63:64], v[2:3], s[8:9], v[185:186]
	v_mul_f64 v[185:186], v[126:127], s[46:47]
	v_add_f64 v[88:89], v[88:89], v[65:66]
	v_mul_f64 v[65:66], v[112:113], s[28:29]
	s_delay_alu instid0(VALU_DEP_1) | instskip(SKIP_1) | instid1(VALU_DEP_2)
	v_fma_f64 v[90:91], v[4:5], s[8:9], v[65:66]
	v_fma_f64 v[65:66], v[4:5], s[8:9], -v[65:66]
	v_add_f64 v[90:91], v[90:91], v[84:85]
	s_delay_alu instid0(VALU_DEP_2) | instskip(SKIP_2) | instid1(VALU_DEP_2)
	v_add_f64 v[86:87], v[65:66], v[59:60]
	v_mul_f64 v[59:60], v[150:151], s[34:35]
	v_add_f64 v[84:85], v[63:64], v[61:62]
	v_fma_f64 v[61:62], v[27:28], s[2:3], -v[59:60]
	s_delay_alu instid0(VALU_DEP_1) | instskip(SKIP_1) | instid1(VALU_DEP_1)
	v_add_f64 v[57:58], v[61:62], v[57:58]
	v_mul_f64 v[61:62], v[148:149], s[34:35]
	v_fma_f64 v[63:64], v[29:30], s[2:3], v[61:62]
	s_delay_alu instid0(VALU_DEP_1) | instskip(SKIP_1) | instid1(VALU_DEP_1)
	v_add_f64 v[55:56], v[63:64], v[55:56]
	v_mul_f64 v[63:64], v[146:147], s[48:49]
	v_fma_f64 v[65:66], v[23:24], s[14:15], -v[63:64]
	s_delay_alu instid0(VALU_DEP_1) | instskip(SKIP_1) | instid1(VALU_DEP_1)
	v_add_f64 v[57:58], v[65:66], v[57:58]
	v_mul_f64 v[65:66], v[144:145], s[48:49]
	v_fma_f64 v[96:97], v[25:26], s[14:15], v[65:66]
	s_delay_alu instid0(VALU_DEP_1) | instskip(SKIP_1) | instid1(VALU_DEP_1)
	v_add_f64 v[55:56], v[96:97], v[55:56]
	v_fma_f64 v[96:97], v[18:19], s[22:23], -v[108:109]
	v_add_f64 v[57:58], v[96:97], v[57:58]
	v_fma_f64 v[96:97], v[21:22], s[22:23], v[110:111]
	s_delay_alu instid0(VALU_DEP_1) | instskip(SKIP_1) | instid1(VALU_DEP_1)
	v_add_f64 v[55:56], v[96:97], v[55:56]
	v_fma_f64 v[96:97], v[14:15], s[18:19], -v[173:174]
	v_add_f64 v[57:58], v[96:97], v[57:58]
	;; [unrolled: 5-line block ×5, first 2 shown]
	v_mul_f64 v[57:58], v[112:113], s[46:47]
	s_delay_alu instid0(VALU_DEP_1) | instskip(SKIP_1) | instid1(VALU_DEP_2)
	v_fma_f64 v[98:99], v[4:5], s[20:21], v[57:58]
	v_fma_f64 v[57:58], v[4:5], s[20:21], -v[57:58]
	v_add_f64 v[98:99], v[98:99], v[55:56]
	v_fma_f64 v[55:56], v[27:28], s[2:3], v[59:60]
	v_fma_f64 v[59:60], v[29:30], s[2:3], -v[61:62]
	v_fma_f64 v[61:62], v[23:24], s[14:15], v[63:64]
	v_mul_f64 v[63:64], v[146:147], s[46:47]
	s_delay_alu instid0(VALU_DEP_4) | instskip(NEXT) | instid1(VALU_DEP_4)
	v_add_f64 v[55:56], v[55:56], v[94:95]
	v_add_f64 v[59:60], v[59:60], v[92:93]
	s_delay_alu instid0(VALU_DEP_2) | instskip(SKIP_2) | instid1(VALU_DEP_2)
	v_add_f64 v[55:56], v[61:62], v[55:56]
	v_fma_f64 v[61:62], v[25:26], s[14:15], -v[65:66]
	v_fma_f64 v[65:66], v[23:24], s[20:21], -v[63:64]
	v_add_f64 v[59:60], v[61:62], v[59:60]
	v_fma_f64 v[61:62], v[18:19], s[22:23], v[108:109]
	s_delay_alu instid0(VALU_DEP_1) | instskip(SKIP_1) | instid1(VALU_DEP_1)
	v_add_f64 v[55:56], v[61:62], v[55:56]
	v_fma_f64 v[61:62], v[21:22], s[22:23], -v[110:111]
	v_add_f64 v[59:60], v[61:62], v[59:60]
	v_fma_f64 v[61:62], v[14:15], s[18:19], v[173:174]
	v_mul_f64 v[173:174], v[138:139], s[34:35]
	s_delay_alu instid0(VALU_DEP_2) | instskip(SKIP_2) | instid1(VALU_DEP_2)
	v_add_f64 v[55:56], v[61:62], v[55:56]
	v_fma_f64 v[61:62], v[16:17], s[18:19], -v[175:176]
	v_mul_f64 v[175:176], v[136:137], s[34:35]
	v_add_f64 v[59:60], v[61:62], v[59:60]
	v_fma_f64 v[61:62], v[10:11], s[8:9], v[177:178]
	s_delay_alu instid0(VALU_DEP_1) | instskip(SKIP_1) | instid1(VALU_DEP_1)
	v_add_f64 v[55:56], v[61:62], v[55:56]
	v_fma_f64 v[61:62], v[12:13], s[8:9], -v[179:180]
	v_add_f64 v[59:60], v[61:62], v[59:60]
	v_fma_f64 v[61:62], v[6:7], s[12:13], v[181:182]
	v_mul_f64 v[181:182], v[130:131], s[30:31]
	s_delay_alu instid0(VALU_DEP_2) | instskip(SKIP_2) | instid1(VALU_DEP_2)
	v_add_f64 v[55:56], v[61:62], v[55:56]
	v_fma_f64 v[61:62], v[8:9], s[12:13], -v[183:184]
	v_mul_f64 v[183:184], v[128:129], s[30:31]
	v_add_f64 v[59:60], v[61:62], v[59:60]
	v_fma_f64 v[61:62], v[2:3], s[20:21], v[185:186]
	v_mul_f64 v[185:186], v[126:127], s[26:27]
	s_delay_alu instid0(VALU_DEP_3) | instskip(NEXT) | instid1(VALU_DEP_3)
	v_add_f64 v[94:95], v[57:58], v[59:60]
	v_add_f64 v[92:93], v[61:62], v[55:56]
	v_mul_f64 v[55:56], v[150:151], s[50:51]
	v_mul_f64 v[59:60], v[148:149], s[50:51]
	s_delay_alu instid0(VALU_DEP_2) | instskip(NEXT) | instid1(VALU_DEP_2)
	v_fma_f64 v[57:58], v[27:28], s[8:9], -v[55:56]
	v_fma_f64 v[61:62], v[29:30], s[8:9], v[59:60]
	v_fma_f64 v[55:56], v[27:28], s[8:9], v[55:56]
	s_delay_alu instid0(VALU_DEP_3) | instskip(NEXT) | instid1(VALU_DEP_3)
	v_add_f64 v[57:58], v[57:58], v[102:103]
	v_add_f64 v[61:62], v[61:62], v[100:101]
	s_delay_alu instid0(VALU_DEP_3) | instskip(SKIP_4) | instid1(VALU_DEP_4)
	v_add_f64 v[53:54], v[55:56], v[53:54]
	v_fma_f64 v[55:56], v[29:30], s[8:9], -v[59:60]
	v_mul_f64 v[59:60], v[146:147], s[30:31]
	v_add_f64 v[57:58], v[65:66], v[57:58]
	v_mul_f64 v[65:66], v[144:145], s[46:47]
	v_add_f64 v[51:52], v[55:56], v[51:52]
	v_fma_f64 v[55:56], v[23:24], s[20:21], v[63:64]
	s_delay_alu instid0(VALU_DEP_3) | instskip(NEXT) | instid1(VALU_DEP_2)
	v_fma_f64 v[100:101], v[25:26], s[20:21], v[65:66]
	v_add_f64 v[53:54], v[55:56], v[53:54]
	v_fma_f64 v[55:56], v[25:26], s[20:21], -v[65:66]
	s_delay_alu instid0(VALU_DEP_3) | instskip(SKIP_1) | instid1(VALU_DEP_3)
	v_add_f64 v[61:62], v[100:101], v[61:62]
	v_mul_f64 v[100:101], v[142:143], s[40:41]
	v_add_f64 v[51:52], v[55:56], v[51:52]
	s_delay_alu instid0(VALU_DEP_2) | instskip(SKIP_1) | instid1(VALU_DEP_2)
	v_fma_f64 v[102:103], v[18:19], s[18:19], -v[100:101]
	v_fma_f64 v[55:56], v[18:19], s[18:19], v[100:101]
	v_add_f64 v[57:58], v[102:103], v[57:58]
	v_mul_f64 v[102:103], v[140:141], s[40:41]
	s_delay_alu instid0(VALU_DEP_3) | instskip(SKIP_2) | instid1(SALU_CYCLE_1)
	v_add_f64 v[53:54], v[55:56], v[53:54]
	s_mov_b32 s41, 0x3fefdd0d
	s_mov_b32 s40, s36
	v_mul_f64 v[177:178], v[134:135], s[40:41]
	v_mul_f64 v[179:180], v[132:133], s[40:41]
	s_delay_alu instid0(VALU_DEP_4) | instskip(SKIP_1) | instid1(VALU_DEP_2)
	v_fma_f64 v[108:109], v[21:22], s[18:19], v[102:103]
	v_fma_f64 v[55:56], v[21:22], s[18:19], -v[102:103]
	v_add_f64 v[61:62], v[108:109], v[61:62]
	v_fma_f64 v[108:109], v[14:15], s[2:3], -v[173:174]
	s_delay_alu instid0(VALU_DEP_3) | instskip(SKIP_1) | instid1(VALU_DEP_3)
	v_add_f64 v[51:52], v[55:56], v[51:52]
	v_fma_f64 v[55:56], v[14:15], s[2:3], v[173:174]
	v_add_f64 v[57:58], v[108:109], v[57:58]
	v_fma_f64 v[108:109], v[16:17], s[2:3], v[175:176]
	s_delay_alu instid0(VALU_DEP_3) | instskip(SKIP_1) | instid1(VALU_DEP_3)
	v_add_f64 v[53:54], v[55:56], v[53:54]
	v_fma_f64 v[55:56], v[16:17], s[2:3], -v[175:176]
	v_add_f64 v[61:62], v[108:109], v[61:62]
	v_fma_f64 v[108:109], v[10:11], s[16:17], -v[177:178]
	s_delay_alu instid0(VALU_DEP_3) | instskip(SKIP_1) | instid1(VALU_DEP_3)
	v_add_f64 v[51:52], v[55:56], v[51:52]
	v_fma_f64 v[55:56], v[10:11], s[16:17], v[177:178]
	v_add_f64 v[57:58], v[108:109], v[57:58]
	v_fma_f64 v[108:109], v[12:13], s[16:17], v[179:180]
	s_delay_alu instid0(VALU_DEP_3) | instskip(SKIP_1) | instid1(VALU_DEP_3)
	v_add_f64 v[53:54], v[55:56], v[53:54]
	;; [unrolled: 10-line block ×3, first 2 shown]
	v_fma_f64 v[55:56], v[8:9], s[22:23], -v[183:184]
	v_add_f64 v[61:62], v[108:109], v[61:62]
	v_fma_f64 v[108:109], v[2:3], s[12:13], -v[185:186]
	s_delay_alu instid0(VALU_DEP_3) | instskip(SKIP_1) | instid1(VALU_DEP_3)
	v_add_f64 v[51:52], v[55:56], v[51:52]
	v_fma_f64 v[55:56], v[2:3], s[12:13], v[185:186]
	v_add_f64 v[108:109], v[108:109], v[57:58]
	v_mul_f64 v[57:58], v[112:113], s[26:27]
	s_delay_alu instid0(VALU_DEP_3) | instskip(SKIP_1) | instid1(VALU_DEP_3)
	v_add_f64 v[100:101], v[55:56], v[53:54]
	v_mul_f64 v[55:56], v[150:151], s[48:49]
	v_fma_f64 v[110:111], v[4:5], s[12:13], v[57:58]
	v_fma_f64 v[57:58], v[4:5], s[12:13], -v[57:58]
	s_delay_alu instid0(VALU_DEP_2) | instskip(NEXT) | instid1(VALU_DEP_2)
	v_add_f64 v[110:111], v[110:111], v[61:62]
	v_add_f64 v[102:103], v[57:58], v[51:52]
	v_fma_f64 v[51:52], v[27:28], s[14:15], -v[55:56]
	v_mul_f64 v[57:58], v[148:149], s[48:49]
	v_fma_f64 v[61:62], v[23:24], s[22:23], -v[59:60]
	v_fma_f64 v[55:56], v[27:28], s[14:15], v[55:56]
	v_fma_f64 v[59:60], v[23:24], s[22:23], v[59:60]
	v_add_f64 v[51:52], v[51:52], v[166:167]
	v_fma_f64 v[53:54], v[29:30], s[14:15], v[57:58]
	v_fma_f64 v[57:58], v[29:30], s[14:15], -v[57:58]
	v_add_f64 v[55:56], v[55:56], v[162:163]
	s_delay_alu instid0(VALU_DEP_4) | instskip(SKIP_4) | instid1(VALU_DEP_4)
	v_add_f64 v[51:52], v[61:62], v[51:52]
	v_mul_f64 v[61:62], v[144:145], s[30:31]
	v_add_f64 v[53:54], v[53:54], v[164:165]
	v_add_f64 v[57:58], v[57:58], v[160:161]
	;; [unrolled: 1-line block ×3, first 2 shown]
	v_fma_f64 v[63:64], v[25:26], s[22:23], v[61:62]
	v_fma_f64 v[59:60], v[25:26], s[22:23], -v[61:62]
	s_delay_alu instid0(VALU_DEP_2) | instskip(SKIP_1) | instid1(VALU_DEP_3)
	v_add_f64 v[53:54], v[63:64], v[53:54]
	v_mul_f64 v[63:64], v[142:143], s[28:29]
	v_add_f64 v[57:58], v[59:60], v[57:58]
	s_delay_alu instid0(VALU_DEP_2) | instskip(SKIP_1) | instid1(VALU_DEP_2)
	v_fma_f64 v[65:66], v[18:19], s[8:9], -v[63:64]
	v_fma_f64 v[59:60], v[18:19], s[8:9], v[63:64]
	v_add_f64 v[51:52], v[65:66], v[51:52]
	v_mul_f64 v[65:66], v[140:141], s[28:29]
	s_delay_alu instid0(VALU_DEP_3) | instskip(NEXT) | instid1(VALU_DEP_2)
	v_add_f64 v[55:56], v[59:60], v[55:56]
	v_fma_f64 v[164:165], v[21:22], s[8:9], v[65:66]
	v_fma_f64 v[59:60], v[21:22], s[8:9], -v[65:66]
	s_delay_alu instid0(VALU_DEP_2) | instskip(SKIP_1) | instid1(VALU_DEP_3)
	v_add_f64 v[53:54], v[164:165], v[53:54]
	v_mul_f64 v[164:165], v[138:139], s[40:41]
	v_add_f64 v[57:58], v[59:60], v[57:58]
	s_delay_alu instid0(VALU_DEP_2) | instskip(SKIP_1) | instid1(VALU_DEP_2)
	v_fma_f64 v[166:167], v[14:15], s[16:17], -v[164:165]
	v_fma_f64 v[59:60], v[14:15], s[16:17], v[164:165]
	v_add_f64 v[51:52], v[166:167], v[51:52]
	v_mul_f64 v[166:167], v[136:137], s[40:41]
	s_delay_alu instid0(VALU_DEP_3) | instskip(NEXT) | instid1(VALU_DEP_2)
	v_add_f64 v[55:56], v[59:60], v[55:56]
	;; [unrolled: 13-line block ×4, first 2 shown]
	v_fma_f64 v[181:182], v[8:9], s[2:3], v[179:180]
	v_fma_f64 v[59:60], v[8:9], s[2:3], -v[179:180]
	s_delay_alu instid0(VALU_DEP_2) | instskip(SKIP_1) | instid1(VALU_DEP_3)
	v_add_f64 v[53:54], v[181:182], v[53:54]
	v_mul_f64 v[181:182], v[126:127], s[42:43]
	v_add_f64 v[57:58], v[59:60], v[57:58]
	s_delay_alu instid0(VALU_DEP_2) | instskip(SKIP_1) | instid1(VALU_DEP_2)
	v_fma_f64 v[183:184], v[2:3], s[18:19], -v[181:182]
	v_fma_f64 v[59:60], v[2:3], s[18:19], v[181:182]
	v_add_f64 v[51:52], v[183:184], v[51:52]
	v_mul_f64 v[183:184], v[112:113], s[42:43]
	s_delay_alu instid0(VALU_DEP_3) | instskip(SKIP_1) | instid1(VALU_DEP_3)
	v_add_f64 v[55:56], v[59:60], v[55:56]
	v_mul_f64 v[59:60], v[150:151], s[42:43]
	v_fma_f64 v[61:62], v[4:5], s[18:19], -v[183:184]
	v_fma_f64 v[185:186], v[4:5], s[18:19], v[183:184]
	v_mul_f64 v[183:184], v[126:127], s[24:25]
	v_mul_f64 v[126:127], v[126:127], s[40:41]
	s_delay_alu instid0(VALU_DEP_4)
	v_add_f64 v[57:58], v[61:62], v[57:58]
	v_fma_f64 v[61:62], v[27:28], s[18:19], -v[59:60]
	v_fma_f64 v[59:60], v[27:28], s[18:19], v[59:60]
	v_add_f64 v[53:54], v[185:186], v[53:54]
	v_mul_f64 v[185:186], v[112:113], s[24:25]
	v_mul_f64 v[112:113], v[112:113], s[40:41]
	v_add_f64 v[49:50], v[61:62], v[49:50]
	v_mul_f64 v[61:62], v[148:149], s[42:43]
	v_add_f64 v[45:46], v[59:60], v[45:46]
	s_delay_alu instid0(VALU_DEP_2) | instskip(SKIP_2) | instid1(VALU_DEP_3)
	v_fma_f64 v[63:64], v[29:30], s[18:19], v[61:62]
	v_fma_f64 v[59:60], v[29:30], s[18:19], -v[61:62]
	v_fma_f64 v[61:62], v[4:5], s[14:15], -v[185:186]
	v_add_f64 v[47:48], v[63:64], v[47:48]
	v_mul_f64 v[63:64], v[146:147], s[36:37]
	s_delay_alu instid0(VALU_DEP_4) | instskip(SKIP_1) | instid1(VALU_DEP_3)
	v_add_f64 v[43:44], v[59:60], v[43:44]
	v_mul_f64 v[146:147], v[146:147], s[28:29]
	v_fma_f64 v[65:66], v[23:24], s[16:17], -v[63:64]
	v_fma_f64 v[59:60], v[23:24], s[16:17], v[63:64]
	v_mul_f64 v[63:64], v[150:151], s[44:45]
	s_delay_alu instid0(VALU_DEP_3) | instskip(SKIP_1) | instid1(VALU_DEP_4)
	v_add_f64 v[49:50], v[65:66], v[49:50]
	v_mul_f64 v[65:66], v[144:145], s[36:37]
	v_add_f64 v[45:46], v[59:60], v[45:46]
	v_mul_f64 v[144:145], v[144:145], s[28:29]
	s_delay_alu instid0(VALU_DEP_3)
	v_fma_f64 v[160:161], v[25:26], s[16:17], v[65:66]
	v_fma_f64 v[59:60], v[25:26], s[16:17], -v[65:66]
	v_mul_f64 v[65:66], v[148:149], s[44:45]
	v_fma_f64 v[148:149], v[23:24], s[8:9], -v[146:147]
	v_fma_f64 v[146:147], v[23:24], s[8:9], v[146:147]
	v_fma_f64 v[23:24], v[23:24], s[18:19], v[39:40]
	v_add_f64 v[47:48], v[160:161], v[47:48]
	v_mul_f64 v[160:161], v[142:143], s[52:53]
	v_add_f64 v[43:44], v[59:60], v[43:44]
	v_mul_f64 v[142:143], v[142:143], s[46:47]
	s_delay_alu instid0(VALU_DEP_3) | instskip(SKIP_1) | instid1(VALU_DEP_2)
	v_fma_f64 v[162:163], v[18:19], s[12:13], -v[160:161]
	v_fma_f64 v[59:60], v[18:19], s[12:13], v[160:161]
	v_add_f64 v[49:50], v[162:163], v[49:50]
	v_mul_f64 v[162:163], v[140:141], s[52:53]
	s_delay_alu instid0(VALU_DEP_3) | instskip(SKIP_1) | instid1(VALU_DEP_3)
	v_add_f64 v[45:46], v[59:60], v[45:46]
	v_mul_f64 v[140:141], v[140:141], s[46:47]
	v_fma_f64 v[164:165], v[21:22], s[12:13], v[162:163]
	v_fma_f64 v[59:60], v[21:22], s[12:13], -v[162:163]
	s_delay_alu instid0(VALU_DEP_2) | instskip(SKIP_1) | instid1(VALU_DEP_3)
	v_add_f64 v[47:48], v[164:165], v[47:48]
	v_mul_f64 v[164:165], v[138:139], s[30:31]
	v_add_f64 v[43:44], v[59:60], v[43:44]
	v_mul_f64 v[138:139], v[138:139], s[26:27]
	s_delay_alu instid0(VALU_DEP_3) | instskip(SKIP_1) | instid1(VALU_DEP_2)
	v_fma_f64 v[166:167], v[14:15], s[22:23], -v[164:165]
	v_fma_f64 v[59:60], v[14:15], s[22:23], v[164:165]
	v_add_f64 v[49:50], v[166:167], v[49:50]
	v_mul_f64 v[166:167], v[136:137], s[30:31]
	s_delay_alu instid0(VALU_DEP_3) | instskip(SKIP_1) | instid1(VALU_DEP_3)
	v_add_f64 v[45:46], v[59:60], v[45:46]
	v_mul_f64 v[136:137], v[136:137], s[26:27]
	v_fma_f64 v[173:174], v[16:17], s[22:23], v[166:167]
	v_fma_f64 v[59:60], v[16:17], s[22:23], -v[166:167]
	s_delay_alu instid0(VALU_DEP_2) | instskip(SKIP_1) | instid1(VALU_DEP_3)
	v_add_f64 v[47:48], v[173:174], v[47:48]
	v_mul_f64 v[173:174], v[134:135], s[34:35]
	v_add_f64 v[43:44], v[59:60], v[43:44]
	v_mul_f64 v[134:135], v[134:135], s[42:43]
	s_delay_alu instid0(VALU_DEP_3) | instskip(SKIP_1) | instid1(VALU_DEP_2)
	v_fma_f64 v[175:176], v[10:11], s[2:3], -v[173:174]
	v_fma_f64 v[59:60], v[10:11], s[2:3], v[173:174]
	v_add_f64 v[49:50], v[175:176], v[49:50]
	v_mul_f64 v[175:176], v[132:133], s[34:35]
	s_delay_alu instid0(VALU_DEP_3) | instskip(SKIP_1) | instid1(VALU_DEP_3)
	v_add_f64 v[45:46], v[59:60], v[45:46]
	v_mul_f64 v[132:133], v[132:133], s[42:43]
	v_fma_f64 v[177:178], v[12:13], s[2:3], v[175:176]
	v_fma_f64 v[59:60], v[12:13], s[2:3], -v[175:176]
	v_mov_b32_e32 v176, v187
	s_delay_alu instid0(VALU_DEP_3) | instskip(SKIP_1) | instid1(VALU_DEP_4)
	v_add_f64 v[47:48], v[177:178], v[47:48]
	v_mul_f64 v[177:178], v[130:131], s[46:47]
	v_add_f64 v[43:44], v[59:60], v[43:44]
	v_mul_f64 v[130:131], v[130:131], s[24:25]
	s_delay_alu instid0(VALU_DEP_3) | instskip(SKIP_1) | instid1(VALU_DEP_2)
	v_fma_f64 v[179:180], v[6:7], s[20:21], -v[177:178]
	v_fma_f64 v[59:60], v[6:7], s[20:21], v[177:178]
	v_add_f64 v[49:50], v[179:180], v[49:50]
	v_mul_f64 v[179:180], v[128:129], s[46:47]
	s_delay_alu instid0(VALU_DEP_3) | instskip(SKIP_1) | instid1(VALU_DEP_3)
	v_add_f64 v[45:46], v[59:60], v[45:46]
	v_mul_f64 v[128:129], v[128:129], s[24:25]
	v_fma_f64 v[59:60], v[8:9], s[20:21], -v[179:180]
	v_fma_f64 v[181:182], v[8:9], s[20:21], v[179:180]
	s_delay_alu instid0(VALU_DEP_2) | instskip(SKIP_1) | instid1(VALU_DEP_3)
	v_add_f64 v[59:60], v[59:60], v[43:44]
	v_fma_f64 v[43:44], v[2:3], s[14:15], v[183:184]
	v_add_f64 v[181:182], v[181:182], v[47:48]
	v_fma_f64 v[47:48], v[2:3], s[14:15], -v[183:184]
	s_delay_alu instid0(VALU_DEP_3)
	v_add_f64 v[43:44], v[43:44], v[45:46]
	v_add_f64 v[45:46], v[61:62], v[59:60]
	v_fma_f64 v[59:60], v[27:28], s[22:23], -v[63:64]
	v_fma_f64 v[61:62], v[29:30], s[22:23], v[65:66]
	v_fma_f64 v[63:64], v[27:28], s[22:23], v[63:64]
	v_fma_f64 v[65:66], v[29:30], s[22:23], -v[65:66]
	v_fma_f64 v[27:28], v[27:28], s[20:21], v[35:36]
	v_fma_f64 v[29:30], v[29:30], s[20:21], -v[37:38]
	v_add_f64 v[47:48], v[47:48], v[49:50]
	v_fma_f64 v[49:50], v[4:5], s[14:15], v[185:186]
	v_add_f64 v[59:60], v[59:60], v[158:159]
	v_add_f64 v[61:62], v[61:62], v[156:157]
	;; [unrolled: 1-line block ×8, first 2 shown]
	v_fma_f64 v[148:149], v[25:26], s[8:9], v[144:145]
	v_fma_f64 v[144:145], v[25:26], s[8:9], -v[144:145]
	v_fma_f64 v[25:26], v[25:26], s[18:19], -v[41:42]
	v_add_f64 v[23:24], v[23:24], v[27:28]
	v_add_f64 v[63:64], v[146:147], v[63:64]
	;; [unrolled: 1-line block ×3, first 2 shown]
	v_fma_f64 v[148:149], v[18:19], s[20:21], -v[142:143]
	v_fma_f64 v[142:143], v[18:19], s[20:21], v[142:143]
	v_fma_f64 v[18:19], v[18:19], s[16:17], v[104:105]
	v_add_f64 v[25:26], v[25:26], v[29:30]
	v_add_f64 v[65:66], v[144:145], v[65:66]
	;; [unrolled: 1-line block ×3, first 2 shown]
	v_fma_f64 v[148:149], v[21:22], s[20:21], v[140:141]
	v_fma_f64 v[140:141], v[21:22], s[20:21], -v[140:141]
	v_fma_f64 v[21:22], v[21:22], s[16:17], -v[106:107]
	v_add_f64 v[18:19], v[18:19], v[23:24]
	v_add_f64 v[63:64], v[142:143], v[63:64]
	v_add_f64 v[61:62], v[148:149], v[61:62]
	v_fma_f64 v[148:149], v[14:15], s[12:13], -v[138:139]
	v_fma_f64 v[138:139], v[14:15], s[12:13], v[138:139]
	v_fma_f64 v[14:15], v[14:15], s[14:15], v[114:115]
	v_add_f64 v[21:22], v[21:22], v[25:26]
	v_add_f64 v[65:66], v[140:141], v[65:66]
                                        ; implicit-def: $vgpr140_vgpr141
	v_add_f64 v[59:60], v[148:149], v[59:60]
	v_fma_f64 v[148:149], v[16:17], s[12:13], v[136:137]
	v_fma_f64 v[136:137], v[16:17], s[12:13], -v[136:137]
	v_fma_f64 v[16:17], v[16:17], s[14:15], -v[116:117]
	v_add_f64 v[14:15], v[14:15], v[18:19]
	v_add_f64 v[63:64], v[138:139], v[63:64]
	v_add_f64 v[61:62], v[148:149], v[61:62]
	v_fma_f64 v[148:149], v[10:11], s[18:19], -v[134:135]
	v_fma_f64 v[134:135], v[10:11], s[18:19], v[134:135]
	v_fma_f64 v[10:11], v[10:11], s[12:13], v[118:119]
	v_add_f64 v[16:17], v[16:17], v[21:22]
	v_add_f64 v[65:66], v[136:137], v[65:66]
	v_add_f64 v[59:60], v[148:149], v[59:60]
	v_fma_f64 v[148:149], v[12:13], s[18:19], v[132:133]
	v_fma_f64 v[132:133], v[12:13], s[18:19], -v[132:133]
	v_fma_f64 v[12:13], v[12:13], s[12:13], -v[120:121]
	v_add_f64 v[10:11], v[10:11], v[14:15]
	v_add_f64 v[63:64], v[134:135], v[63:64]
	v_add_f64 v[61:62], v[148:149], v[61:62]
	v_fma_f64 v[148:149], v[6:7], s[14:15], -v[130:131]
	v_fma_f64 v[130:131], v[6:7], s[14:15], v[130:131]
	v_fma_f64 v[6:7], v[6:7], s[8:9], v[122:123]
	v_add_f64 v[12:13], v[12:13], v[16:17]
	v_add_f64 v[65:66], v[132:133], v[65:66]
	;; [unrolled: 12-line block ×3, first 2 shown]
	v_add_f64 v[59:60], v[148:149], v[59:60]
	v_fma_f64 v[148:149], v[4:5], s[16:17], v[112:113]
	v_fma_f64 v[112:113], v[4:5], s[16:17], -v[112:113]
	v_fma_f64 v[4:5], v[4:5], s[2:3], -v[170:171]
	v_add_f64 v[104:105], v[2:3], v[6:7]
	v_add_f64 v[63:64], v[126:127], v[63:64]
	v_mul_lo_u16 v2, v172, 17
	s_load_b64 s[2:3], s[0:1], 0x38
	s_delay_alu instid0(VALU_DEP_1) | instskip(NEXT) | instid1(VALU_DEP_1)
	v_and_b32_e32 v2, 0xffff, v2
	v_lshl_add_u32 v19, v2, 4, v187
	v_add_f64 v[61:62], v[148:149], v[61:62]
	v_add_f64 v[65:66], v[112:113], v[65:66]
	;; [unrolled: 1-line block ×3, first 2 shown]
	ds_store_b128 v19, v[68:71] offset:16
	ds_store_b128 v19, v[80:83] offset:32
	;; [unrolled: 1-line block ×15, first 2 shown]
	ds_store_b128 v19, v[72:75]
	ds_store_b128 v19, v[104:107] offset:256
	s_waitcnt lgkmcnt(0)
	s_barrier
	buffer_gl0_inv
	ds_load_b128 v[108:111], v67
	ds_load_b128 v[144:147], v67 offset:9248
	ds_load_b128 v[112:115], v67 offset:1088
	;; [unrolled: 1-line block ×15, first 2 shown]
	s_and_saveexec_b32 s0, vcc_lo
	s_cbranch_execz .LBB0_3
; %bb.2:
	ds_load_b128 v[104:107], v67 offset:8704
	ds_load_b128 v[140:143], v67 offset:17952
.LBB0_3:
	s_or_b32 exec_lo, exec_lo, s0
	scratch_load_b32 v14, off, off          ; 4-byte Folded Reload
	s_waitcnt vmcnt(0)
	v_add_nc_u16 v2, v14, 0x44
	v_add_nc_u16 v4, v14, 0x88
	v_and_b32_e32 v5, 0xff, v14
	v_add_co_u32 v3, null, 0xcc, v14
	s_delay_alu instid0(VALU_DEP_4) | instskip(NEXT) | instid1(VALU_DEP_4)
	v_and_b32_e32 v6, 0xff, v2
	v_and_b32_e32 v8, 0xff, v4
	s_delay_alu instid0(VALU_DEP_4) | instskip(SKIP_1) | instid1(VALU_DEP_4)
	v_mul_lo_u16 v5, 0xf1, v5
	v_add_co_u32 v7, null, 0x110, v14
	v_mul_lo_u16 v6, 0xf1, v6
	s_delay_alu instid0(VALU_DEP_4) | instskip(NEXT) | instid1(VALU_DEP_4)
	v_mul_lo_u16 v8, 0xf1, v8
	v_lshrrev_b16 v18, 12, v5
	v_add_co_u32 v9, null, 0x154, v14
	s_delay_alu instid0(VALU_DEP_4) | instskip(NEXT) | instid1(VALU_DEP_4)
	v_lshrrev_b16 v61, 12, v6
	v_lshrrev_b16 v62, 12, v8
	s_delay_alu instid0(VALU_DEP_4) | instskip(SKIP_1) | instid1(VALU_DEP_4)
	v_mul_lo_u16 v6, v18, 17
	v_add_co_u32 v5, null, 0x198, v14
	v_mul_lo_u16 v8, v61, 17
	s_delay_alu instid0(VALU_DEP_4) | instskip(NEXT) | instid1(VALU_DEP_4)
	v_mul_lo_u16 v11, v62, 17
	v_sub_nc_u16 v63, v14, v6
	v_and_b32_e32 v6, 0xffff, v3
	v_add_co_u32 v10, null, 0x1dc, v14
	v_sub_nc_u16 v2, v2, v8
	v_sub_nc_u16 v4, v4, v11
	v_and_b32_e32 v11, 0xff, v63
	v_and_b32_e32 v8, 0xffff, v7
	;; [unrolled: 1-line block ×5, first 2 shown]
	v_lshlrev_b32_e32 v4, 4, v11
	v_and_b32_e32 v2, 0xffff, v9
	v_mul_u32_u24_e32 v6, 0xf0f1, v6
	v_lshlrev_b32_e32 v11, 4, v68
	v_mul_u32_u24_e32 v8, 0xf0f1, v8
	v_lshlrev_b32_e32 v13, 4, v69
	s_clause 0x1
	global_load_b128 v[43:46], v4, s[10:11]
	global_load_b128 v[39:42], v11, s[10:11]
	v_and_b32_e32 v4, 0xffff, v10
	v_mul_u32_u24_e32 v2, 0xf0f1, v2
	v_lshrrev_b32_e32 v64, 20, v6
	v_mul_u32_u24_e32 v6, 0xf0f1, v12
	v_lshrrev_b32_e32 v70, 20, v8
	;; [unrolled: 2-line block ×3, first 2 shown]
	v_mul_lo_u16 v8, v64, 17
	v_lshrrev_b32_e32 v72, 20, v6
	v_mul_lo_u16 v11, v70, 17
	v_lshrrev_b32_e32 v73, 20, v4
	v_mul_lo_u16 v2, v71, 17
	v_sub_nc_u16 v74, v3, v8
	v_mul_lo_u16 v3, v72, 17
	v_sub_nc_u16 v75, v7, v11
	;; [unrolled: 2-line block ×3, first 2 shown]
	v_and_b32_e32 v6, 0xffff, v74
	v_sub_nc_u16 v77, v5, v3
	v_and_b32_e32 v7, 0xffff, v75
	v_sub_nc_u16 v78, v10, v4
	v_and_b32_e32 v4, 0xffff, v76
	v_lshlrev_b32_e32 v2, 4, v6
	v_and_b32_e32 v5, 0xffff, v77
	v_lshlrev_b32_e32 v3, 4, v7
	v_and_b32_e32 v6, 0xffff, v78
	s_clause 0x1
	global_load_b128 v[100:103], v13, s[10:11]
	global_load_b128 v[92:95], v2, s[10:11]
	v_lshlrev_b32_e32 v2, 4, v4
	v_lshlrev_b32_e32 v4, 4, v5
	v_mad_u16 v18, v18, 34, v63
	v_lshlrev_b32_e32 v5, 4, v6
	s_clause 0x3
	global_load_b128 v[96:99], v3, s[10:11]
	global_load_b128 v[47:50], v2, s[10:11]
	;; [unrolled: 1-line block ×4, first 2 shown]
	v_add_co_u32 v2, s0, 0x220, v14
	v_mad_u16 v74, v64, 34, v74
	v_and_b32_e32 v18, 0xff, v18
	v_mad_u16 v70, v70, 34, v75
	s_delay_alu instid0(VALU_DEP_4) | instskip(SKIP_1) | instid1(VALU_DEP_2)
	v_and_b32_e32 v4, 0xffff, v2
	v_add_co_ci_u32_e64 v3, null, 0, 0, s0
	v_mul_u32_u24_e32 v4, 0xf0f1, v4
	s_delay_alu instid0(VALU_DEP_1) | instskip(SKIP_2) | instid1(VALU_DEP_1)
	v_lshrrev_b32_e32 v4, 20, v4
	scratch_store_b32 off, v4, off offset:276 ; 4-byte Folded Spill
	v_mul_lo_u16 v4, v4, 17
	v_sub_nc_u16 v4, v2, v4
	scratch_store_b32 off, v4, off offset:284 ; 4-byte Folded Spill
	v_and_b32_e32 v4, 0xffff, v4
	s_delay_alu instid0(VALU_DEP_1)
	v_lshlrev_b32_e32 v4, 4, v4
	global_load_b128 v[79:82], v4, s[10:11]
	s_waitcnt vmcnt(8)
	scratch_store_b128 off, v[43:46], off offset:324 ; 16-byte Folded Spill
	s_waitcnt lgkmcnt(14)
	v_mul_f64 v[4:5], v[146:147], v[45:46]
	v_mul_f64 v[6:7], v[144:145], v[45:46]
	s_waitcnt vmcnt(7) lgkmcnt(12)
	v_mul_f64 v[8:9], v[150:151], v[41:42]
	v_mul_f64 v[10:11], v[148:149], v[41:42]
	scratch_store_b128 off, v[39:42], off offset:308 ; 16-byte Folded Spill
	s_waitcnt vmcnt(6) lgkmcnt(10)
	v_mul_f64 v[12:13], v[154:155], v[102:103]
	s_waitcnt vmcnt(5) lgkmcnt(8)
	v_mul_f64 v[16:17], v[158:159], v[94:95]
	v_mul_f64 v[14:15], v[152:153], v[102:103]
	;; [unrolled: 1-line block ×3, first 2 shown]
	s_waitcnt vmcnt(4) lgkmcnt(6)
	v_mul_f64 v[23:24], v[162:163], v[98:99]
	v_mul_f64 v[25:26], v[160:161], v[98:99]
	s_waitcnt vmcnt(3) lgkmcnt(4)
	v_mul_f64 v[27:28], v[166:167], v[49:50]
	v_mul_f64 v[29:30], v[164:165], v[49:50]
	;; [unrolled: 3-line block ×4, first 2 shown]
	v_fma_f64 v[4:5], v[144:145], v[43:44], -v[4:5]
	v_fma_f64 v[6:7], v[146:147], v[43:44], v[6:7]
	scratch_store_b128 off, v[55:58], off offset:340 ; 16-byte Folded Spill
	v_fma_f64 v[8:9], v[148:149], v[39:40], -v[8:9]
	v_fma_f64 v[10:11], v[150:151], v[39:40], v[10:11]
	s_clause 0x1
	scratch_store_b128 off, v[47:50], off offset:372
	scratch_store_b128 off, v[51:54], off offset:356
	v_fma_f64 v[12:13], v[152:153], v[100:101], -v[12:13]
	v_fma_f64 v[16:17], v[156:157], v[92:93], -v[16:17]
	v_fma_f64 v[14:15], v[154:155], v[100:101], v[14:15]
	v_fma_f64 v[39:40], v[158:159], v[92:93], v[21:22]
	v_fma_f64 v[41:42], v[160:161], v[96:97], -v[23:24]
	v_fma_f64 v[43:44], v[162:163], v[96:97], v[25:26]
	v_fma_f64 v[45:46], v[164:165], v[47:48], -v[27:28]
	;; [unrolled: 2-line block ×4, first 2 shown]
	v_fma_f64 v[55:56], v[174:175], v[55:56], v[37:38]
	s_waitcnt vmcnt(0)
	v_mul_f64 v[57:58], v[142:143], v[81:82]
	v_mul_f64 v[59:60], v[140:141], v[81:82]
	v_add_f64 v[4:5], v[108:109], -v[4:5]
	v_add_f64 v[6:7], v[110:111], -v[6:7]
	;; [unrolled: 1-line block ×4, first 2 shown]
	scratch_store_b128 off, v[79:82], off offset:292 ; 16-byte Folded Spill
	s_waitcnt_vscnt null, 0x0
	s_barrier
	buffer_gl0_inv
	v_add_f64 v[12:13], v[116:117], -v[12:13]
	v_add_f64 v[21:22], v[120:121], -v[16:17]
	;; [unrolled: 1-line block ×12, first 2 shown]
	v_fma_f64 v[16:17], v[140:141], v[79:80], -v[57:58]
	v_fma_f64 v[65:66], v[142:143], v[79:80], v[59:60]
	v_and_b32_e32 v41, 0xffff, v61
	v_and_b32_e32 v42, 0xffff, v62
	v_fma_f64 v[43:44], v[110:111], 2.0, -v[6:7]
	v_fma_f64 v[45:46], v[112:113], 2.0, -v[8:9]
	v_fma_f64 v[47:48], v[114:115], 2.0, -v[10:11]
	v_mul_u32_u24_e32 v79, 34, v41
	v_mul_u32_u24_e32 v80, 34, v42
	v_fma_f64 v[41:42], v[108:109], 2.0, -v[4:5]
	v_fma_f64 v[49:50], v[116:117], 2.0, -v[12:13]
	;; [unrolled: 1-line block ×13, first 2 shown]
	v_add_f64 v[204:205], v[104:105], -v[16:17]
	v_add_f64 v[206:207], v[106:107], -v[65:66]
	v_mad_u16 v16, v71, 34, v76
	v_mad_u16 v17, v72, 34, v77
	v_mad_u16 v65, v73, 34, v78
	v_mov_b32_e32 v120, v176
	v_add_nc_u32_e32 v66, v80, v69
	v_and_b32_e32 v69, 0xffff, v70
	v_and_b32_e32 v16, 0xffff, v16
	;; [unrolled: 1-line block ×3, first 2 shown]
	v_lshl_add_u32 v72, v18, 4, v120
	v_add_nc_u32_e32 v18, v79, v68
	v_and_b32_e32 v68, 0xffff, v74
	v_and_b32_e32 v65, 0xffff, v65
	v_lshl_add_u32 v70, v66, 4, v120
	v_lshl_add_u32 v127, v16, 4, v120
	;; [unrolled: 1-line block ×7, first 2 shown]
	ds_store_b128 v72, v[41:44]
	scratch_store_b32 off, v72, off offset:420 ; 4-byte Folded Spill
	ds_store_b128 v72, v[4:7] offset:272
	ds_store_b128 v71, v[45:48]
	scratch_store_b32 off, v71, off offset:412 ; 4-byte Folded Spill
	ds_store_b128 v71, v[8:11] offset:272
	;; [unrolled: 3-line block ×5, first 2 shown]
	ds_store_b128 v127, v[61:64]
	ds_store_b128 v127, v[29:32] offset:272
	ds_store_b128 v126, v[108:111]
	ds_store_b128 v126, v[33:36] offset:272
	;; [unrolled: 2-line block ×3, first 2 shown]
	s_and_saveexec_b32 s0, vcc_lo
	s_cbranch_execz .LBB0_5
; %bb.4:
	s_clause 0x1
	scratch_load_b32 v8, off, off offset:276
	scratch_load_b32 v9, off, off offset:284
	v_fma_f64 v[6:7], v[106:107], 2.0, -v[206:207]
	v_fma_f64 v[4:5], v[104:105], 2.0, -v[204:205]
	s_waitcnt vmcnt(0)
	v_mad_u16 v8, v8, 34, v9
	s_delay_alu instid0(VALU_DEP_1) | instskip(NEXT) | instid1(VALU_DEP_1)
	v_and_b32_e32 v8, 0xffff, v8
	v_lshl_add_u32 v8, v8, 4, v120
	ds_store_b128 v8, v[4:7]
	ds_store_b128 v8, v[204:207] offset:272
.LBB0_5:
	s_or_b32 exec_lo, exec_lo, s0
	s_waitcnt lgkmcnt(0)
	s_waitcnt_vscnt null, 0x0
	s_barrier
	buffer_gl0_inv
	ds_load_b128 v[172:175], v67
	ds_load_b128 v[8:11], v67 offset:1088
	ds_load_b128 v[12:15], v67 offset:2176
	;; [unrolled: 1-line block ×16, first 2 shown]
	scratch_load_b32 v68, off, off          ; 4-byte Folded Reload
	s_mov_b32 s38, 0x5d8e7cdc
	s_mov_b32 s44, 0x2a9d6da3
	;; [unrolled: 1-line block ×35, first 2 shown]
	s_waitcnt vmcnt(0)
	v_add_co_u32 v4, s0, 0xffffffde, v68
	s_delay_alu instid0(VALU_DEP_1) | instskip(NEXT) | instid1(VALU_DEP_2)
	v_add_co_ci_u32_e64 v5, null, 0, -1, s0
	v_cndmask_b32_e32 v6, v4, v68, vcc_lo
	s_delay_alu instid0(VALU_DEP_2) | instskip(NEXT) | instid1(VALU_DEP_1)
	v_cndmask_b32_e64 v7, v5, 0, vcc_lo
	v_lshlrev_b64 v[16:17], 8, v[6:7]
	s_delay_alu instid0(VALU_DEP_1) | instskip(NEXT) | instid1(VALU_DEP_1)
	v_add_co_u32 v25, s0, s10, v16
	v_add_co_ci_u32_e64 v26, s0, s11, v17, s0
	s_clause 0xb
	global_load_b128 v[104:107], v[25:26], off offset:320
	global_load_b128 v[112:115], v[25:26], off offset:304
	;; [unrolled: 1-line block ×12, first 2 shown]
	s_mov_b32 s0, 0x3259b75e
	s_mov_b32 s1, 0x3fb79ee6
	s_waitcnt vmcnt(8) lgkmcnt(15)
	v_mul_f64 v[16:17], v[10:11], v[90:91]
	s_delay_alu instid0(VALU_DEP_1) | instskip(SKIP_3) | instid1(VALU_DEP_2)
	v_fma_f64 v[212:213], v[8:9], v[88:89], -v[16:17]
	v_mul_f64 v[7:8], v[8:9], v[90:91]
	s_waitcnt vmcnt(1) lgkmcnt(6)
	v_mul_f64 v[17:18], v[61:62], v[150:151]
	v_fma_f64 v[214:215], v[10:11], v[88:89], v[7:8]
	v_mul_f64 v[7:8], v[14:15], v[118:119]
	s_waitcnt vmcnt(0)
	v_mul_f64 v[9:10], v[57:58], v[158:159]
	s_delay_alu instid0(VALU_DEP_4) | instskip(SKIP_1) | instid1(VALU_DEP_4)
	v_fma_f64 v[176:177], v[59:60], v[148:149], -v[17:18]
	v_mul_f64 v[17:18], v[59:60], v[150:151]
	v_fma_f64 v[35:36], v[12:13], v[116:117], -v[7:8]
	v_mul_f64 v[7:8], v[12:13], v[118:119]
	s_delay_alu instid0(VALU_DEP_3) | instskip(NEXT) | instid1(VALU_DEP_2)
	v_fma_f64 v[17:18], v[61:62], v[148:149], v[17:18]
	v_fma_f64 v[37:38], v[14:15], v[116:117], v[7:8]
	v_mul_f64 v[7:8], v[23:24], v[114:115]
	v_fma_f64 v[13:14], v[55:56], v[156:157], -v[9:10]
	v_mul_f64 v[9:10], v[55:56], v[158:159]
	s_delay_alu instid0(VALU_DEP_3) | instskip(SKIP_1) | instid1(VALU_DEP_3)
	v_fma_f64 v[33:34], v[21:22], v[112:113], -v[7:8]
	v_mul_f64 v[7:8], v[21:22], v[114:115]
	v_fma_f64 v[9:10], v[57:58], v[156:157], v[9:10]
	s_delay_alu instid0(VALU_DEP_2) | instskip(SKIP_1) | instid1(VALU_DEP_1)
	v_fma_f64 v[27:28], v[23:24], v[112:113], v[7:8]
	v_mul_f64 v[7:8], v[31:32], v[106:107]
	v_fma_f64 v[23:24], v[29:30], v[104:105], -v[7:8]
	v_mul_f64 v[7:8], v[29:30], v[106:107]
	s_waitcnt lgkmcnt(5)
	v_mul_f64 v[29:30], v[65:66], v[142:143]
	s_delay_alu instid0(VALU_DEP_2) | instskip(SKIP_1) | instid1(VALU_DEP_3)
	v_fma_f64 v[194:195], v[31:32], v[104:105], v[7:8]
	v_mul_f64 v[7:8], v[41:42], v[146:147]
	v_fma_f64 v[184:185], v[63:64], v[140:141], -v[29:30]
	v_mul_f64 v[29:30], v[63:64], v[142:143]
	s_delay_alu instid0(VALU_DEP_3) | instskip(SKIP_1) | instid1(VALU_DEP_3)
	v_fma_f64 v[190:191], v[39:40], v[144:145], -v[7:8]
	v_mul_f64 v[7:8], v[39:40], v[146:147]
	v_fma_f64 v[180:181], v[65:66], v[140:141], v[29:30]
	s_waitcnt lgkmcnt(4)
	v_mul_f64 v[29:30], v[110:111], v[134:135]
	s_delay_alu instid0(VALU_DEP_3) | instskip(SKIP_1) | instid1(VALU_DEP_3)
	v_fma_f64 v[186:187], v[41:42], v[144:145], v[7:8]
	v_mul_f64 v[7:8], v[45:46], v[138:139]
	v_fma_f64 v[192:193], v[108:109], v[132:133], -v[29:30]
	v_mul_f64 v[29:30], v[108:109], v[134:135]
	s_delay_alu instid0(VALU_DEP_3) | instskip(SKIP_1) | instid1(VALU_DEP_3)
	v_fma_f64 v[182:183], v[43:44], v[136:137], -v[7:8]
	v_mul_f64 v[7:8], v[43:44], v[138:139]
	v_fma_f64 v[188:189], v[110:111], v[132:133], v[29:30]
	s_clause 0x3
	global_load_b128 v[108:111], v[25:26], off offset:512
	global_load_b128 v[152:155], v[25:26], off offset:496
	;; [unrolled: 1-line block ×4, first 2 shown]
	s_waitcnt vmcnt(0) lgkmcnt(0)
	s_barrier
	buffer_gl0_inv
	v_fma_f64 v[178:179], v[45:46], v[136:137], v[7:8]
	v_mul_f64 v[7:8], v[49:50], v[130:131]
	s_delay_alu instid0(VALU_DEP_1) | instskip(SKIP_1) | instid1(VALU_DEP_1)
	v_fma_f64 v[21:22], v[47:48], v[128:129], -v[7:8]
	v_mul_f64 v[7:8], v[47:48], v[130:131]
	v_fma_f64 v[15:16], v[49:50], v[128:129], v[7:8]
	v_mul_f64 v[7:8], v[53:54], v[86:87]
	v_add_f64 v[49:50], v[172:173], v[212:213]
	s_delay_alu instid0(VALU_DEP_2) | instskip(SKIP_2) | instid1(VALU_DEP_4)
	v_fma_f64 v[11:12], v[51:52], v[84:85], -v[7:8]
	v_mul_f64 v[7:8], v[51:52], v[86:87]
	v_add_f64 v[51:52], v[174:175], v[214:215]
	v_add_f64 v[49:50], v[49:50], v[35:36]
	s_delay_alu instid0(VALU_DEP_3) | instskip(NEXT) | instid1(VALU_DEP_3)
	v_fma_f64 v[7:8], v[53:54], v[84:85], v[7:8]
	v_add_f64 v[51:52], v[51:52], v[37:38]
	s_delay_alu instid0(VALU_DEP_3) | instskip(NEXT) | instid1(VALU_DEP_2)
	v_add_f64 v[49:50], v[49:50], v[33:34]
	v_add_f64 v[51:52], v[51:52], v[27:28]
	s_delay_alu instid0(VALU_DEP_2) | instskip(NEXT) | instid1(VALU_DEP_2)
	v_add_f64 v[49:50], v[49:50], v[23:24]
	v_add_f64 v[51:52], v[51:52], v[194:195]
	s_delay_alu instid0(VALU_DEP_2) | instskip(NEXT) | instid1(VALU_DEP_2)
	v_add_f64 v[49:50], v[49:50], v[190:191]
	v_add_f64 v[51:52], v[51:52], v[186:187]
	s_delay_alu instid0(VALU_DEP_2)
	v_add_f64 v[49:50], v[49:50], v[182:183]
	v_mul_f64 v[45:46], v[170:171], v[110:111]
	v_mul_f64 v[41:42], v[210:211], v[154:155]
	;; [unrolled: 1-line block ×5, first 2 shown]
	v_add_f64 v[51:52], v[51:52], v[178:179]
	v_add_f64 v[49:50], v[49:50], v[21:22]
	v_fma_f64 v[45:46], v[168:169], v[108:109], -v[45:46]
	v_fma_f64 v[43:44], v[208:209], v[152:153], -v[41:42]
	;; [unrolled: 1-line block ×4, first 2 shown]
	v_mul_f64 v[25:26], v[196:197], v[166:167]
	v_mul_f64 v[31:32], v[200:201], v[162:163]
	v_mul_f64 v[41:42], v[208:209], v[154:155]
	v_fma_f64 v[47:48], v[170:171], v[108:109], v[47:48]
	v_add_f64 v[51:52], v[51:52], v[15:16]
	v_add_f64 v[49:50], v[49:50], v[11:12]
	v_fma_f64 v[25:26], v[198:199], v[164:165], v[25:26]
	v_fma_f64 v[31:32], v[202:203], v[160:161], v[31:32]
	;; [unrolled: 1-line block ×3, first 2 shown]
	v_add_f64 v[51:52], v[51:52], v[7:8]
	v_add_f64 v[49:50], v[49:50], v[13:14]
	s_delay_alu instid0(VALU_DEP_2) | instskip(NEXT) | instid1(VALU_DEP_2)
	v_add_f64 v[51:52], v[51:52], v[9:10]
	v_add_f64 v[49:50], v[49:50], v[176:177]
	s_delay_alu instid0(VALU_DEP_2) | instskip(NEXT) | instid1(VALU_DEP_2)
	;; [unrolled: 3-line block ×7, first 2 shown]
	v_add_f64 v[51:52], v[51:52], v[41:42]
	v_add_f64 v[168:169], v[49:50], v[45:46]
	;; [unrolled: 1-line block ×3, first 2 shown]
	v_add_f64 v[45:46], v[212:213], -v[45:46]
	s_delay_alu instid0(VALU_DEP_4) | instskip(SKIP_2) | instid1(VALU_DEP_4)
	v_add_f64 v[170:171], v[51:52], v[47:48]
	v_add_f64 v[51:52], v[214:215], v[47:48]
	v_add_f64 v[47:48], v[214:215], -v[47:48]
	v_mul_f64 v[57:58], v[45:46], s[38:39]
	v_mul_f64 v[65:66], v[45:46], s[44:45]
	;; [unrolled: 1-line block ×9, first 2 shown]
	v_fma_f64 v[59:60], v[51:52], s[22:23], v[57:58]
	v_fma_f64 v[57:58], v[51:52], s[22:23], -v[57:58]
	v_mul_f64 v[61:62], v[47:48], s[44:45]
	v_fma_f64 v[196:197], v[51:52], s[16:17], v[65:66]
	v_fma_f64 v[65:66], v[51:52], s[16:17], -v[65:66]
	v_mul_f64 v[198:199], v[47:48], s[46:47]
	v_fma_f64 v[208:209], v[51:52], s[12:13], v[202:203]
	v_fma_f64 v[202:203], v[51:52], s[12:13], -v[202:203]
	v_mul_f64 v[210:211], v[47:48], s[40:41]
	v_fma_f64 v[216:217], v[51:52], s[0:1], v[214:215]
	v_fma_f64 v[214:215], v[51:52], s[0:1], -v[214:215]
	v_mul_f64 v[218:219], v[47:48], s[14:15]
	v_fma_f64 v[224:225], v[51:52], s[8:9], v[222:223]
	v_fma_f64 v[222:223], v[51:52], s[8:9], -v[222:223]
	v_mul_f64 v[226:227], v[47:48], s[20:21]
	v_fma_f64 v[232:233], v[51:52], s[18:19], v[230:231]
	v_fma_f64 v[230:231], v[51:52], s[18:19], -v[230:231]
	v_mul_f64 v[234:235], v[47:48], s[28:29]
	v_fma_f64 v[240:241], v[51:52], s[26:27], v[238:239]
	v_fma_f64 v[238:239], v[51:52], s[26:27], -v[238:239]
	v_mul_f64 v[47:48], v[47:48], s[30:31]
	v_fma_f64 v[247:248], v[51:52], s[34:35], v[45:46]
	v_fma_f64 v[45:46], v[51:52], s[34:35], -v[45:46]
	v_add_f64 v[51:52], v[37:38], v[41:42]
	v_add_f64 v[37:38], v[37:38], -v[41:42]
	v_fma_f64 v[55:56], v[49:50], s[22:23], -v[53:54]
	v_fma_f64 v[53:54], v[49:50], s[22:23], v[53:54]
	v_add_f64 v[57:58], v[174:175], v[57:58]
	v_fma_f64 v[63:64], v[49:50], s[16:17], -v[61:62]
	v_fma_f64 v[61:62], v[49:50], s[16:17], v[61:62]
	v_add_f64 v[59:60], v[174:175], v[59:60]
	;; [unrolled: 3-line block ×8, first 2 shown]
	v_add_f64 v[35:36], v[35:36], -v[43:44]
	v_mul_f64 v[41:42], v[37:38], s[44:45]
	v_add_f64 v[214:215], v[174:175], v[214:215]
	v_add_f64 v[224:225], v[174:175], v[224:225]
	;; [unrolled: 1-line block ×25, first 2 shown]
	v_mul_f64 v[174:175], v[35:36], s[20:21]
	v_fma_f64 v[43:44], v[49:50], s[16:17], -v[41:42]
	v_fma_f64 v[41:42], v[49:50], s[16:17], v[41:42]
	s_delay_alu instid0(VALU_DEP_2) | instskip(SKIP_1) | instid1(VALU_DEP_3)
	v_add_f64 v[43:44], v[43:44], v[55:56]
	v_mul_f64 v[55:56], v[35:36], s[44:45]
	v_add_f64 v[41:42], v[41:42], v[53:54]
	s_delay_alu instid0(VALU_DEP_2) | instskip(SKIP_2) | instid1(VALU_DEP_3)
	v_fma_f64 v[172:173], v[51:52], s[16:17], v[55:56]
	v_fma_f64 v[53:54], v[51:52], s[16:17], -v[55:56]
	v_mul_f64 v[55:56], v[37:38], s[40:41]
	v_add_f64 v[59:60], v[172:173], v[59:60]
	s_delay_alu instid0(VALU_DEP_3) | instskip(NEXT) | instid1(VALU_DEP_3)
	v_add_f64 v[53:54], v[53:54], v[57:58]
	v_fma_f64 v[57:58], v[49:50], s[0:1], -v[55:56]
	v_fma_f64 v[55:56], v[49:50], s[0:1], v[55:56]
	s_delay_alu instid0(VALU_DEP_2) | instskip(SKIP_1) | instid1(VALU_DEP_3)
	v_add_f64 v[57:58], v[57:58], v[63:64]
	v_mul_f64 v[63:64], v[35:36], s[40:41]
	v_add_f64 v[55:56], v[55:56], v[61:62]
	s_delay_alu instid0(VALU_DEP_2) | instskip(SKIP_2) | instid1(VALU_DEP_3)
	v_fma_f64 v[172:173], v[51:52], s[0:1], v[63:64]
	v_fma_f64 v[61:62], v[51:52], s[0:1], -v[63:64]
	v_mul_f64 v[63:64], v[37:38], s[20:21]
	v_add_f64 v[172:173], v[172:173], v[196:197]
	s_delay_alu instid0(VALU_DEP_3) | instskip(NEXT) | instid1(VALU_DEP_3)
	v_add_f64 v[61:62], v[61:62], v[65:66]
	v_fma_f64 v[65:66], v[49:50], s[18:19], -v[63:64]
	v_fma_f64 v[63:64], v[49:50], s[18:19], v[63:64]
	v_fma_f64 v[196:197], v[51:52], s[18:19], v[174:175]
	v_fma_f64 v[174:175], v[51:52], s[18:19], -v[174:175]
	s_delay_alu instid0(VALU_DEP_4) | instskip(NEXT) | instid1(VALU_DEP_4)
	v_add_f64 v[65:66], v[65:66], v[200:201]
	v_add_f64 v[63:64], v[63:64], v[198:199]
	v_mul_f64 v[198:199], v[37:38], s[30:31]
	s_delay_alu instid0(VALU_DEP_4) | instskip(SKIP_2) | instid1(VALU_DEP_4)
	v_add_f64 v[174:175], v[174:175], v[202:203]
	v_mul_f64 v[202:203], v[35:36], s[30:31]
	v_add_f64 v[196:197], v[196:197], v[208:209]
	v_fma_f64 v[200:201], v[49:50], s[34:35], -v[198:199]
	v_fma_f64 v[198:199], v[49:50], s[34:35], v[198:199]
	s_delay_alu instid0(VALU_DEP_4) | instskip(SKIP_1) | instid1(VALU_DEP_4)
	v_fma_f64 v[208:209], v[51:52], s[34:35], v[202:203]
	v_fma_f64 v[202:203], v[51:52], s[34:35], -v[202:203]
	v_add_f64 v[200:201], v[200:201], v[212:213]
	s_delay_alu instid0(VALU_DEP_4) | instskip(SKIP_1) | instid1(VALU_DEP_4)
	v_add_f64 v[198:199], v[198:199], v[210:211]
	v_mul_f64 v[210:211], v[37:38], s[50:51]
	v_add_f64 v[202:203], v[202:203], v[214:215]
	v_mul_f64 v[214:215], v[35:36], s[50:51]
	v_add_f64 v[208:209], v[208:209], v[216:217]
	s_delay_alu instid0(VALU_DEP_4) | instskip(SKIP_1) | instid1(VALU_DEP_4)
	v_fma_f64 v[212:213], v[49:50], s[26:27], -v[210:211]
	v_fma_f64 v[210:211], v[49:50], s[26:27], v[210:211]
	v_fma_f64 v[216:217], v[51:52], s[26:27], v[214:215]
	v_fma_f64 v[214:215], v[51:52], s[26:27], -v[214:215]
	s_delay_alu instid0(VALU_DEP_4) | instskip(NEXT) | instid1(VALU_DEP_4)
	v_add_f64 v[212:213], v[212:213], v[220:221]
	v_add_f64 v[210:211], v[210:211], v[218:219]
	v_mul_f64 v[218:219], v[37:38], s[48:49]
	s_delay_alu instid0(VALU_DEP_4) | instskip(SKIP_2) | instid1(VALU_DEP_4)
	v_add_f64 v[214:215], v[214:215], v[222:223]
	v_mul_f64 v[222:223], v[35:36], s[48:49]
	v_add_f64 v[216:217], v[216:217], v[224:225]
	v_fma_f64 v[220:221], v[49:50], s[8:9], -v[218:219]
	v_fma_f64 v[218:219], v[49:50], s[8:9], v[218:219]
	s_delay_alu instid0(VALU_DEP_4) | instskip(SKIP_1) | instid1(VALU_DEP_4)
	v_fma_f64 v[224:225], v[51:52], s[8:9], v[222:223]
	v_fma_f64 v[222:223], v[51:52], s[8:9], -v[222:223]
	v_add_f64 v[220:221], v[220:221], v[228:229]
	s_delay_alu instid0(VALU_DEP_4)
	v_add_f64 v[218:219], v[218:219], v[226:227]
	v_mul_f64 v[226:227], v[37:38], s[24:25]
	v_mul_f64 v[37:38], v[37:38], s[36:37]
	v_add_f64 v[222:223], v[222:223], v[230:231]
	v_mul_f64 v[230:231], v[35:36], s[24:25]
	v_mul_f64 v[35:36], v[35:36], s[36:37]
	v_add_f64 v[224:225], v[224:225], v[232:233]
	v_fma_f64 v[228:229], v[49:50], s[12:13], -v[226:227]
	v_fma_f64 v[226:227], v[49:50], s[12:13], v[226:227]
	v_fma_f64 v[232:233], v[51:52], s[12:13], v[230:231]
	v_fma_f64 v[230:231], v[51:52], s[12:13], -v[230:231]
	s_delay_alu instid0(VALU_DEP_4) | instskip(NEXT) | instid1(VALU_DEP_4)
	v_add_f64 v[228:229], v[228:229], v[236:237]
	v_add_f64 v[226:227], v[226:227], v[234:235]
	v_fma_f64 v[234:235], v[49:50], s[22:23], -v[37:38]
	v_fma_f64 v[37:38], v[49:50], s[22:23], v[37:38]
	v_fma_f64 v[236:237], v[51:52], s[22:23], v[35:36]
	v_fma_f64 v[35:36], v[51:52], s[22:23], -v[35:36]
	v_add_f64 v[230:231], v[230:231], v[238:239]
	v_add_f64 v[232:233], v[232:233], v[240:241]
	;; [unrolled: 1-line block ×5, first 2 shown]
	v_add_f64 v[27:28], v[27:28], -v[31:32]
	v_add_f64 v[35:36], v[35:36], v[45:46]
	v_add_f64 v[45:46], v[33:34], v[39:40]
	v_add_f64 v[33:34], v[33:34], -v[39:40]
	v_add_f64 v[236:237], v[236:237], v[247:248]
	v_mul_f64 v[31:32], v[27:28], s[46:47]
	s_delay_alu instid0(VALU_DEP_1) | instskip(SKIP_1) | instid1(VALU_DEP_2)
	v_fma_f64 v[39:40], v[45:46], s[12:13], -v[31:32]
	v_fma_f64 v[31:32], v[45:46], s[12:13], v[31:32]
	v_add_f64 v[39:40], v[39:40], v[43:44]
	v_mul_f64 v[43:44], v[33:34], s[46:47]
	s_delay_alu instid0(VALU_DEP_3) | instskip(NEXT) | instid1(VALU_DEP_2)
	v_add_f64 v[31:32], v[31:32], v[41:42]
	v_fma_f64 v[49:50], v[47:48], s[12:13], v[43:44]
	v_fma_f64 v[41:42], v[47:48], s[12:13], -v[43:44]
	v_mul_f64 v[43:44], v[27:28], s[20:21]
	s_delay_alu instid0(VALU_DEP_3) | instskip(NEXT) | instid1(VALU_DEP_3)
	v_add_f64 v[49:50], v[49:50], v[59:60]
	v_add_f64 v[41:42], v[41:42], v[53:54]
	s_delay_alu instid0(VALU_DEP_3) | instskip(SKIP_2) | instid1(VALU_DEP_3)
	v_fma_f64 v[51:52], v[45:46], s[18:19], -v[43:44]
	v_fma_f64 v[43:44], v[45:46], s[18:19], v[43:44]
	v_mul_f64 v[53:54], v[33:34], s[20:21]
	v_add_f64 v[51:52], v[51:52], v[57:58]
	s_delay_alu instid0(VALU_DEP_3) | instskip(SKIP_1) | instid1(VALU_DEP_4)
	v_add_f64 v[43:44], v[43:44], v[55:56]
	v_mul_f64 v[55:56], v[27:28], s[42:43]
	v_fma_f64 v[57:58], v[47:48], s[18:19], v[53:54]
	v_fma_f64 v[53:54], v[47:48], s[18:19], -v[53:54]
	s_delay_alu instid0(VALU_DEP_3) | instskip(SKIP_1) | instid1(VALU_DEP_3)
	v_fma_f64 v[59:60], v[45:46], s[34:35], -v[55:56]
	v_fma_f64 v[55:56], v[45:46], s[34:35], v[55:56]
	v_add_f64 v[53:54], v[53:54], v[61:62]
	v_mul_f64 v[61:62], v[33:34], s[42:43]
	v_add_f64 v[57:58], v[57:58], v[172:173]
	s_mov_b32 s43, 0x3fe58eea
	s_mov_b32 s42, s44
	v_add_f64 v[59:60], v[59:60], v[65:66]
	v_add_f64 v[55:56], v[55:56], v[63:64]
	v_mul_f64 v[63:64], v[27:28], s[48:49]
	v_fma_f64 v[65:66], v[47:48], s[34:35], v[61:62]
	v_fma_f64 v[61:62], v[47:48], s[34:35], -v[61:62]
	s_delay_alu instid0(VALU_DEP_3) | instskip(SKIP_1) | instid1(VALU_DEP_3)
	v_fma_f64 v[172:173], v[45:46], s[8:9], -v[63:64]
	v_fma_f64 v[63:64], v[45:46], s[8:9], v[63:64]
	v_add_f64 v[61:62], v[61:62], v[174:175]
	v_mul_f64 v[174:175], v[33:34], s[48:49]
	v_add_f64 v[65:66], v[65:66], v[196:197]
	v_add_f64 v[172:173], v[172:173], v[200:201]
	v_add_f64 v[63:64], v[63:64], v[198:199]
	v_mul_f64 v[198:199], v[27:28], s[42:43]
	v_fma_f64 v[196:197], v[47:48], s[8:9], v[174:175]
	v_fma_f64 v[174:175], v[47:48], s[8:9], -v[174:175]
	s_delay_alu instid0(VALU_DEP_3) | instskip(SKIP_1) | instid1(VALU_DEP_3)
	v_fma_f64 v[200:201], v[45:46], s[16:17], -v[198:199]
	v_fma_f64 v[198:199], v[45:46], s[16:17], v[198:199]
	v_add_f64 v[174:175], v[174:175], v[202:203]
	v_mul_f64 v[202:203], v[33:34], s[42:43]
	v_add_f64 v[196:197], v[196:197], v[208:209]
	;; [unrolled: 11-line block ×3, first 2 shown]
	v_add_f64 v[212:213], v[212:213], v[220:221]
	v_add_f64 v[210:211], v[210:211], v[218:219]
	v_mul_f64 v[218:219], v[27:28], s[40:41]
	v_fma_f64 v[216:217], v[47:48], s[22:23], v[214:215]
	v_fma_f64 v[214:215], v[47:48], s[22:23], -v[214:215]
	v_mul_f64 v[27:28], v[27:28], s[28:29]
	s_delay_alu instid0(VALU_DEP_4) | instskip(SKIP_1) | instid1(VALU_DEP_4)
	v_fma_f64 v[220:221], v[45:46], s[0:1], -v[218:219]
	v_fma_f64 v[218:219], v[45:46], s[0:1], v[218:219]
	v_add_f64 v[214:215], v[214:215], v[222:223]
	v_mul_f64 v[222:223], v[33:34], s[40:41]
	v_mul_f64 v[33:34], v[33:34], s[28:29]
	v_add_f64 v[216:217], v[216:217], v[224:225]
	v_add_f64 v[220:221], v[220:221], v[228:229]
	v_add_f64 v[218:219], v[218:219], v[226:227]
	v_fma_f64 v[226:227], v[45:46], s[26:27], -v[27:28]
	v_fma_f64 v[27:28], v[45:46], s[26:27], v[27:28]
	v_fma_f64 v[228:229], v[47:48], s[26:27], v[33:34]
	v_fma_f64 v[33:34], v[47:48], s[26:27], -v[33:34]
	v_fma_f64 v[224:225], v[47:48], s[0:1], v[222:223]
	v_fma_f64 v[222:223], v[47:48], s[0:1], -v[222:223]
	v_add_f64 v[226:227], v[226:227], v[234:235]
	v_add_f64 v[27:28], v[27:28], v[37:38]
	;; [unrolled: 1-line block ×3, first 2 shown]
	v_add_f64 v[25:26], v[194:195], -v[25:26]
	v_add_f64 v[33:34], v[33:34], v[35:36]
	v_add_f64 v[35:36], v[23:24], v[29:30]
	v_add_f64 v[23:24], v[23:24], -v[29:30]
	v_add_f64 v[222:223], v[222:223], v[230:231]
	v_add_f64 v[224:225], v[224:225], v[232:233]
	;; [unrolled: 1-line block ×3, first 2 shown]
	v_mul_f64 v[29:30], v[25:26], s[40:41]
	v_mul_f64 v[194:195], v[23:24], s[46:47]
	s_delay_alu instid0(VALU_DEP_2) | instskip(SKIP_1) | instid1(VALU_DEP_2)
	v_fma_f64 v[45:46], v[35:36], s[0:1], -v[29:30]
	v_fma_f64 v[29:30], v[35:36], s[0:1], v[29:30]
	v_add_f64 v[39:40], v[45:46], v[39:40]
	v_mul_f64 v[45:46], v[23:24], s[40:41]
	s_delay_alu instid0(VALU_DEP_3) | instskip(NEXT) | instid1(VALU_DEP_2)
	v_add_f64 v[29:30], v[29:30], v[31:32]
	v_fma_f64 v[31:32], v[37:38], s[0:1], -v[45:46]
	v_fma_f64 v[47:48], v[37:38], s[0:1], v[45:46]
	s_delay_alu instid0(VALU_DEP_2) | instskip(SKIP_1) | instid1(VALU_DEP_3)
	v_add_f64 v[31:32], v[31:32], v[41:42]
	v_mul_f64 v[41:42], v[25:26], s[30:31]
	v_add_f64 v[47:48], v[47:48], v[49:50]
	v_mul_f64 v[49:50], v[23:24], s[30:31]
	s_delay_alu instid0(VALU_DEP_3) | instskip(SKIP_1) | instid1(VALU_DEP_2)
	v_fma_f64 v[45:46], v[35:36], s[34:35], -v[41:42]
	v_fma_f64 v[41:42], v[35:36], s[34:35], v[41:42]
	v_add_f64 v[45:46], v[45:46], v[51:52]
	s_delay_alu instid0(VALU_DEP_4) | instskip(NEXT) | instid1(VALU_DEP_3)
	v_fma_f64 v[51:52], v[37:38], s[34:35], v[49:50]
	v_add_f64 v[41:42], v[41:42], v[43:44]
	v_fma_f64 v[43:44], v[37:38], s[34:35], -v[49:50]
	v_mul_f64 v[49:50], v[25:26], s[48:49]
	s_delay_alu instid0(VALU_DEP_4) | instskip(SKIP_1) | instid1(VALU_DEP_4)
	v_add_f64 v[51:52], v[51:52], v[57:58]
	v_mul_f64 v[57:58], v[23:24], s[48:49]
	v_add_f64 v[43:44], v[43:44], v[53:54]
	s_delay_alu instid0(VALU_DEP_4) | instskip(SKIP_1) | instid1(VALU_DEP_2)
	v_fma_f64 v[53:54], v[35:36], s[8:9], -v[49:50]
	v_fma_f64 v[49:50], v[35:36], s[8:9], v[49:50]
	v_add_f64 v[53:54], v[53:54], v[59:60]
	v_fma_f64 v[59:60], v[37:38], s[8:9], v[57:58]
	s_delay_alu instid0(VALU_DEP_3) | instskip(SKIP_2) | instid1(VALU_DEP_4)
	v_add_f64 v[49:50], v[49:50], v[55:56]
	v_fma_f64 v[55:56], v[37:38], s[8:9], -v[57:58]
	v_mul_f64 v[57:58], v[25:26], s[36:37]
	v_add_f64 v[59:60], v[59:60], v[65:66]
	v_mul_f64 v[65:66], v[23:24], s[36:37]
	s_delay_alu instid0(VALU_DEP_4) | instskip(NEXT) | instid1(VALU_DEP_4)
	v_add_f64 v[55:56], v[55:56], v[61:62]
	v_fma_f64 v[61:62], v[35:36], s[22:23], -v[57:58]
	v_fma_f64 v[57:58], v[35:36], s[22:23], v[57:58]
	s_delay_alu instid0(VALU_DEP_2) | instskip(SKIP_1) | instid1(VALU_DEP_3)
	v_add_f64 v[61:62], v[61:62], v[172:173]
	v_fma_f64 v[172:173], v[37:38], s[22:23], v[65:66]
	v_add_f64 v[57:58], v[57:58], v[63:64]
	v_fma_f64 v[63:64], v[37:38], s[22:23], -v[65:66]
	v_mul_f64 v[65:66], v[25:26], s[46:47]
	s_delay_alu instid0(VALU_DEP_4) | instskip(SKIP_1) | instid1(VALU_DEP_4)
	v_add_f64 v[172:173], v[172:173], v[196:197]
	v_fma_f64 v[196:197], v[37:38], s[12:13], v[194:195]
	v_add_f64 v[63:64], v[63:64], v[174:175]
	s_delay_alu instid0(VALU_DEP_4) | instskip(SKIP_3) | instid1(VALU_DEP_4)
	v_fma_f64 v[174:175], v[35:36], s[12:13], -v[65:66]
	v_fma_f64 v[65:66], v[35:36], s[12:13], v[65:66]
	v_fma_f64 v[194:195], v[37:38], s[12:13], -v[194:195]
	v_add_f64 v[196:197], v[196:197], v[208:209]
	v_add_f64 v[174:175], v[174:175], v[200:201]
	s_delay_alu instid0(VALU_DEP_4) | instskip(SKIP_3) | instid1(VALU_DEP_3)
	v_add_f64 v[65:66], v[65:66], v[198:199]
	v_mul_f64 v[198:199], v[25:26], s[28:29]
	v_add_f64 v[194:195], v[194:195], v[202:203]
	v_mul_f64 v[202:203], v[23:24], s[28:29]
	v_fma_f64 v[200:201], v[35:36], s[26:27], -v[198:199]
	v_fma_f64 v[198:199], v[35:36], s[26:27], v[198:199]
	s_delay_alu instid0(VALU_DEP_3) | instskip(SKIP_1) | instid1(VALU_DEP_4)
	v_fma_f64 v[208:209], v[37:38], s[26:27], v[202:203]
	v_fma_f64 v[202:203], v[37:38], s[26:27], -v[202:203]
	v_add_f64 v[200:201], v[200:201], v[212:213]
	s_delay_alu instid0(VALU_DEP_4) | instskip(SKIP_1) | instid1(VALU_DEP_4)
	v_add_f64 v[198:199], v[198:199], v[210:211]
	v_mul_f64 v[210:211], v[25:26], s[52:53]
	v_add_f64 v[202:203], v[202:203], v[214:215]
	v_mul_f64 v[214:215], v[23:24], s[52:53]
	v_mul_f64 v[25:26], v[25:26], s[42:43]
	;; [unrolled: 1-line block ×3, first 2 shown]
	v_add_f64 v[208:209], v[208:209], v[216:217]
	v_fma_f64 v[212:213], v[35:36], s[18:19], -v[210:211]
	v_fma_f64 v[210:211], v[35:36], s[18:19], v[210:211]
	v_fma_f64 v[216:217], v[37:38], s[18:19], v[214:215]
	v_fma_f64 v[214:215], v[37:38], s[18:19], -v[214:215]
	s_delay_alu instid0(VALU_DEP_4) | instskip(NEXT) | instid1(VALU_DEP_4)
	v_add_f64 v[212:213], v[212:213], v[220:221]
	v_add_f64 v[210:211], v[210:211], v[218:219]
	v_fma_f64 v[218:219], v[35:36], s[16:17], -v[25:26]
	v_fma_f64 v[220:221], v[37:38], s[16:17], v[23:24]
	v_fma_f64 v[25:26], v[35:36], s[16:17], v[25:26]
	v_fma_f64 v[23:24], v[37:38], s[16:17], -v[23:24]
	v_add_f64 v[37:38], v[186:187], -v[188:189]
	v_add_f64 v[35:36], v[190:191], -v[192:193]
	v_add_f64 v[214:215], v[214:215], v[222:223]
	v_add_f64 v[216:217], v[216:217], v[224:225]
	;; [unrolled: 1-line block ×3, first 2 shown]
	v_add_f64 v[21:22], v[21:22], -v[176:177]
	v_add_f64 v[218:219], v[218:219], v[226:227]
	v_add_f64 v[220:221], v[220:221], v[228:229]
	;; [unrolled: 1-line block ×6, first 2 shown]
	v_mul_f64 v[186:187], v[37:38], s[14:15]
	v_add_f64 v[226:227], v[15:16], v[17:18]
	v_add_f64 v[15:16], v[15:16], -v[17:18]
	s_delay_alu instid0(VALU_DEP_3) | instskip(SKIP_1) | instid1(VALU_DEP_3)
	v_fma_f64 v[188:189], v[27:28], s[8:9], -v[186:187]
	v_fma_f64 v[186:187], v[27:28], s[8:9], v[186:187]
	v_mul_f64 v[17:18], v[15:16], s[28:29]
	s_delay_alu instid0(VALU_DEP_3) | instskip(SKIP_1) | instid1(VALU_DEP_4)
	v_add_f64 v[39:40], v[188:189], v[39:40]
	v_mul_f64 v[188:189], v[35:36], s[14:15]
	v_add_f64 v[29:30], v[186:187], v[29:30]
	s_delay_alu instid0(VALU_DEP_2) | instskip(SKIP_1) | instid1(VALU_DEP_2)
	v_fma_f64 v[186:187], v[33:34], s[8:9], -v[188:189]
	v_fma_f64 v[190:191], v[33:34], s[8:9], v[188:189]
	v_add_f64 v[31:32], v[186:187], v[31:32]
	v_mul_f64 v[186:187], v[37:38], s[50:51]
	s_delay_alu instid0(VALU_DEP_3) | instskip(NEXT) | instid1(VALU_DEP_2)
	v_add_f64 v[47:48], v[190:191], v[47:48]
	v_fma_f64 v[188:189], v[27:28], s[26:27], -v[186:187]
	v_fma_f64 v[186:187], v[27:28], s[26:27], v[186:187]
	s_delay_alu instid0(VALU_DEP_2) | instskip(SKIP_1) | instid1(VALU_DEP_3)
	v_add_f64 v[45:46], v[188:189], v[45:46]
	v_mul_f64 v[188:189], v[35:36], s[50:51]
	v_add_f64 v[41:42], v[186:187], v[41:42]
	s_delay_alu instid0(VALU_DEP_2) | instskip(SKIP_1) | instid1(VALU_DEP_2)
	v_fma_f64 v[186:187], v[33:34], s[26:27], -v[188:189]
	v_fma_f64 v[190:191], v[33:34], s[26:27], v[188:189]
	v_add_f64 v[43:44], v[186:187], v[43:44]
	v_mul_f64 v[186:187], v[37:38], s[42:43]
	s_delay_alu instid0(VALU_DEP_3) | instskip(NEXT) | instid1(VALU_DEP_2)
	v_add_f64 v[51:52], v[190:191], v[51:52]
	v_fma_f64 v[188:189], v[27:28], s[16:17], -v[186:187]
	v_fma_f64 v[186:187], v[27:28], s[16:17], v[186:187]
	s_delay_alu instid0(VALU_DEP_2) | instskip(SKIP_1) | instid1(VALU_DEP_3)
	;; [unrolled: 13-line block ×3, first 2 shown]
	v_add_f64 v[61:62], v[188:189], v[61:62]
	v_mul_f64 v[188:189], v[35:36], s[46:47]
	v_add_f64 v[57:58], v[186:187], v[57:58]
	s_mov_b32 s47, 0x3fefdd0d
	s_mov_b32 s46, s40
	s_delay_alu instid0(VALU_DEP_2) | instskip(SKIP_1) | instid1(VALU_DEP_2)
	v_fma_f64 v[186:187], v[33:34], s[12:13], -v[188:189]
	v_fma_f64 v[190:191], v[33:34], s[12:13], v[188:189]
	v_add_f64 v[63:64], v[186:187], v[63:64]
	v_mul_f64 v[186:187], v[37:38], s[30:31]
	s_delay_alu instid0(VALU_DEP_3) | instskip(NEXT) | instid1(VALU_DEP_2)
	v_add_f64 v[172:173], v[190:191], v[172:173]
	v_fma_f64 v[188:189], v[27:28], s[34:35], -v[186:187]
	v_fma_f64 v[186:187], v[27:28], s[34:35], v[186:187]
	s_delay_alu instid0(VALU_DEP_2) | instskip(SKIP_1) | instid1(VALU_DEP_3)
	v_add_f64 v[174:175], v[188:189], v[174:175]
	v_mul_f64 v[188:189], v[35:36], s[30:31]
	v_add_f64 v[65:66], v[186:187], v[65:66]
	s_delay_alu instid0(VALU_DEP_2) | instskip(SKIP_2) | instid1(VALU_DEP_3)
	v_fma_f64 v[190:191], v[33:34], s[34:35], v[188:189]
	v_fma_f64 v[186:187], v[33:34], s[34:35], -v[188:189]
	v_mul_f64 v[188:189], v[37:38], s[46:47]
	v_add_f64 v[190:191], v[190:191], v[196:197]
	s_delay_alu instid0(VALU_DEP_3) | instskip(NEXT) | instid1(VALU_DEP_3)
	v_add_f64 v[186:187], v[186:187], v[194:195]
	v_fma_f64 v[192:193], v[27:28], s[0:1], -v[188:189]
	v_fma_f64 v[188:189], v[27:28], s[0:1], v[188:189]
	v_mul_f64 v[194:195], v[35:36], s[46:47]
	s_delay_alu instid0(VALU_DEP_3) | instskip(NEXT) | instid1(VALU_DEP_3)
	v_add_f64 v[192:193], v[192:193], v[200:201]
	v_add_f64 v[188:189], v[188:189], v[198:199]
	v_mul_f64 v[198:199], v[37:38], s[38:39]
	s_delay_alu instid0(VALU_DEP_4) | instskip(SKIP_2) | instid1(VALU_DEP_4)
	v_fma_f64 v[196:197], v[33:34], s[0:1], v[194:195]
	v_fma_f64 v[194:195], v[33:34], s[0:1], -v[194:195]
	v_mul_f64 v[37:38], v[37:38], s[20:21]
	v_fma_f64 v[200:201], v[27:28], s[22:23], -v[198:199]
	v_fma_f64 v[198:199], v[27:28], s[22:23], v[198:199]
	s_delay_alu instid0(VALU_DEP_4)
	v_add_f64 v[194:195], v[194:195], v[202:203]
	v_mul_f64 v[202:203], v[35:36], s[38:39]
	v_mul_f64 v[35:36], v[35:36], s[20:21]
	v_add_f64 v[196:197], v[196:197], v[208:209]
	v_add_f64 v[200:201], v[200:201], v[212:213]
	;; [unrolled: 1-line block ×3, first 2 shown]
	v_fma_f64 v[210:211], v[27:28], s[18:19], -v[37:38]
	v_fma_f64 v[27:28], v[27:28], s[18:19], v[37:38]
	v_add_f64 v[37:38], v[178:179], -v[180:181]
	v_fma_f64 v[208:209], v[33:34], s[22:23], v[202:203]
	v_fma_f64 v[202:203], v[33:34], s[22:23], -v[202:203]
	v_fma_f64 v[212:213], v[33:34], s[18:19], v[35:36]
	v_add_f64 v[210:211], v[210:211], v[218:219]
	v_add_f64 v[25:26], v[27:28], v[25:26]
	v_fma_f64 v[27:28], v[33:34], s[18:19], -v[35:36]
	v_add_f64 v[33:34], v[178:179], v[180:181]
	v_mul_f64 v[178:179], v[37:38], s[20:21]
	v_add_f64 v[35:36], v[182:183], -v[184:185]
	v_add_f64 v[202:203], v[202:203], v[214:215]
	v_add_f64 v[208:209], v[208:209], v[216:217]
	;; [unrolled: 1-line block ×5, first 2 shown]
	s_delay_alu instid0(VALU_DEP_1) | instskip(SKIP_1) | instid1(VALU_DEP_2)
	v_fma_f64 v[180:181], v[27:28], s[18:19], -v[178:179]
	v_fma_f64 v[178:179], v[27:28], s[18:19], v[178:179]
	v_add_f64 v[39:40], v[180:181], v[39:40]
	v_mul_f64 v[180:181], v[35:36], s[20:21]
	s_delay_alu instid0(VALU_DEP_3) | instskip(NEXT) | instid1(VALU_DEP_2)
	v_add_f64 v[29:30], v[178:179], v[29:30]
	v_fma_f64 v[178:179], v[33:34], s[18:19], -v[180:181]
	v_fma_f64 v[182:183], v[33:34], s[18:19], v[180:181]
	s_delay_alu instid0(VALU_DEP_2) | instskip(SKIP_1) | instid1(VALU_DEP_3)
	v_add_f64 v[31:32], v[178:179], v[31:32]
	v_mul_f64 v[178:179], v[37:38], s[48:49]
	v_add_f64 v[47:48], v[182:183], v[47:48]
	s_delay_alu instid0(VALU_DEP_2) | instskip(SKIP_1) | instid1(VALU_DEP_2)
	v_fma_f64 v[180:181], v[27:28], s[8:9], -v[178:179]
	v_fma_f64 v[178:179], v[27:28], s[8:9], v[178:179]
	v_add_f64 v[45:46], v[180:181], v[45:46]
	v_mul_f64 v[180:181], v[35:36], s[48:49]
	s_delay_alu instid0(VALU_DEP_3) | instskip(NEXT) | instid1(VALU_DEP_2)
	v_add_f64 v[41:42], v[178:179], v[41:42]
	v_fma_f64 v[178:179], v[33:34], s[8:9], -v[180:181]
	v_fma_f64 v[182:183], v[33:34], s[8:9], v[180:181]
	s_delay_alu instid0(VALU_DEP_2) | instskip(SKIP_1) | instid1(VALU_DEP_3)
	v_add_f64 v[43:44], v[178:179], v[43:44]
	v_mul_f64 v[178:179], v[37:38], s[38:39]
	v_add_f64 v[51:52], v[182:183], v[51:52]
	s_delay_alu instid0(VALU_DEP_2) | instskip(SKIP_1) | instid1(VALU_DEP_2)
	;; [unrolled: 13-line block ×5, first 2 shown]
	v_fma_f64 v[61:62], v[27:28], s[16:17], -v[57:58]
	v_fma_f64 v[57:58], v[27:28], s[16:17], v[57:58]
	v_add_f64 v[192:193], v[61:62], v[192:193]
	v_mul_f64 v[61:62], v[35:36], s[44:45]
	s_delay_alu instid0(VALU_DEP_3) | instskip(NEXT) | instid1(VALU_DEP_2)
	v_add_f64 v[188:189], v[57:58], v[188:189]
	v_fma_f64 v[57:58], v[33:34], s[16:17], -v[61:62]
	v_fma_f64 v[63:64], v[33:34], s[16:17], v[61:62]
	s_delay_alu instid0(VALU_DEP_2) | instskip(SKIP_2) | instid1(VALU_DEP_4)
	v_add_f64 v[194:195], v[57:58], v[194:195]
	v_mul_f64 v[57:58], v[37:38], s[30:31]
	v_mul_f64 v[37:38], v[37:38], s[24:25]
	v_add_f64 v[196:197], v[63:64], v[196:197]
	s_delay_alu instid0(VALU_DEP_3) | instskip(SKIP_1) | instid1(VALU_DEP_2)
	v_fma_f64 v[61:62], v[27:28], s[34:35], -v[57:58]
	v_fma_f64 v[57:58], v[27:28], s[34:35], v[57:58]
	v_add_f64 v[200:201], v[61:62], v[200:201]
	v_mul_f64 v[61:62], v[35:36], s[30:31]
	s_delay_alu instid0(VALU_DEP_3) | instskip(SKIP_1) | instid1(VALU_DEP_3)
	v_add_f64 v[198:199], v[57:58], v[198:199]
	v_mul_f64 v[35:36], v[35:36], s[24:25]
	v_fma_f64 v[57:58], v[33:34], s[34:35], -v[61:62]
	v_fma_f64 v[63:64], v[33:34], s[34:35], v[61:62]
	s_delay_alu instid0(VALU_DEP_2) | instskip(SKIP_2) | instid1(VALU_DEP_4)
	v_add_f64 v[202:203], v[57:58], v[202:203]
	v_fma_f64 v[57:58], v[27:28], s[12:13], -v[37:38]
	v_fma_f64 v[27:28], v[27:28], s[12:13], v[37:38]
	v_add_f64 v[208:209], v[63:64], v[208:209]
	s_delay_alu instid0(VALU_DEP_3) | instskip(NEXT) | instid1(VALU_DEP_3)
	v_add_f64 v[210:211], v[57:58], v[210:211]
	v_add_f64 v[222:223], v[27:28], v[25:26]
	v_fma_f64 v[25:26], v[33:34], s[12:13], -v[35:36]
	v_fma_f64 v[57:58], v[33:34], s[12:13], v[35:36]
	s_delay_alu instid0(VALU_DEP_2) | instskip(SKIP_2) | instid1(VALU_DEP_4)
	v_add_f64 v[23:24], v[25:26], v[23:24]
	v_fma_f64 v[25:26], v[224:225], s[26:27], -v[17:18]
	v_fma_f64 v[17:18], v[224:225], s[26:27], v[17:18]
	v_add_f64 v[212:213], v[57:58], v[212:213]
	s_delay_alu instid0(VALU_DEP_3) | instskip(SKIP_1) | instid1(VALU_DEP_4)
	v_add_f64 v[228:229], v[25:26], v[39:40]
	v_mul_f64 v[25:26], v[21:22], s[28:29]
	v_add_f64 v[232:233], v[17:18], v[29:30]
	s_delay_alu instid0(VALU_DEP_2) | instskip(SKIP_1) | instid1(VALU_DEP_2)
	v_fma_f64 v[17:18], v[226:227], s[26:27], -v[25:26]
	v_fma_f64 v[27:28], v[226:227], s[26:27], v[25:26]
	v_add_f64 v[234:235], v[17:18], v[31:32]
	v_mul_f64 v[17:18], v[15:16], s[24:25]
	s_delay_alu instid0(VALU_DEP_3) | instskip(NEXT) | instid1(VALU_DEP_2)
	v_add_f64 v[230:231], v[27:28], v[47:48]
	v_fma_f64 v[25:26], v[224:225], s[12:13], -v[17:18]
	v_fma_f64 v[17:18], v[224:225], s[12:13], v[17:18]
	s_delay_alu instid0(VALU_DEP_2) | instskip(SKIP_1) | instid1(VALU_DEP_3)
	v_add_f64 v[180:181], v[25:26], v[45:46]
	v_mul_f64 v[25:26], v[21:22], s[24:25]
	v_add_f64 v[176:177], v[17:18], v[41:42]
	s_delay_alu instid0(VALU_DEP_2) | instskip(SKIP_1) | instid1(VALU_DEP_2)
	v_fma_f64 v[17:18], v[226:227], s[12:13], -v[25:26]
	v_fma_f64 v[27:28], v[226:227], s[12:13], v[25:26]
	v_add_f64 v[178:179], v[17:18], v[43:44]
	v_mul_f64 v[17:18], v[15:16], s[40:41]
	s_delay_alu instid0(VALU_DEP_3) | instskip(NEXT) | instid1(VALU_DEP_2)
	v_add_f64 v[182:183], v[27:28], v[51:52]
	v_fma_f64 v[25:26], v[224:225], s[0:1], -v[17:18]
	v_fma_f64 v[17:18], v[224:225], s[0:1], v[17:18]
	s_delay_alu instid0(VALU_DEP_2) | instskip(SKIP_1) | instid1(VALU_DEP_3)
	;; [unrolled: 13-line block ×5, first 2 shown]
	v_add_f64 v[41:42], v[25:26], v[192:193]
	v_mul_f64 v[25:26], v[21:22], s[30:31]
	v_add_f64 v[39:40], v[17:18], v[188:189]
	s_delay_alu instid0(VALU_DEP_2) | instskip(SKIP_1) | instid1(VALU_DEP_2)
	v_fma_f64 v[17:18], v[226:227], s[34:35], -v[25:26]
	v_fma_f64 v[27:28], v[226:227], s[34:35], v[25:26]
	v_add_f64 v[37:38], v[17:18], v[194:195]
	v_mul_f64 v[17:18], v[15:16], s[42:43]
	v_mul_f64 v[15:16], v[15:16], s[14:15]
	s_delay_alu instid0(VALU_DEP_4) | instskip(NEXT) | instid1(VALU_DEP_3)
	v_add_f64 v[43:44], v[27:28], v[196:197]
	v_fma_f64 v[25:26], v[224:225], s[16:17], -v[17:18]
	v_fma_f64 v[17:18], v[224:225], s[16:17], v[17:18]
	s_delay_alu instid0(VALU_DEP_2) | instskip(SKIP_1) | instid1(VALU_DEP_3)
	v_add_f64 v[33:34], v[25:26], v[200:201]
	v_mul_f64 v[25:26], v[21:22], s[42:43]
	v_add_f64 v[31:32], v[17:18], v[198:199]
	s_delay_alu instid0(VALU_DEP_2) | instskip(SKIP_1) | instid1(VALU_DEP_2)
	v_fma_f64 v[17:18], v[226:227], s[16:17], -v[25:26]
	v_fma_f64 v[27:28], v[226:227], s[16:17], v[25:26]
	v_add_f64 v[29:30], v[17:18], v[202:203]
	v_fma_f64 v[17:18], v[224:225], s[8:9], -v[15:16]
	s_delay_alu instid0(VALU_DEP_3) | instskip(SKIP_1) | instid1(VALU_DEP_3)
	v_add_f64 v[35:36], v[27:28], v[208:209]
	v_fma_f64 v[15:16], v[224:225], s[8:9], v[15:16]
	v_add_f64 v[27:28], v[17:18], v[210:211]
	v_mul_f64 v[17:18], v[21:22], s[14:15]
	s_delay_alu instid0(VALU_DEP_1) | instskip(NEXT) | instid1(VALU_DEP_1)
	v_fma_f64 v[21:22], v[226:227], s[8:9], v[17:18]
	v_add_f64 v[25:26], v[21:22], v[212:213]
	v_add_f64 v[21:22], v[15:16], v[222:223]
	v_fma_f64 v[15:16], v[226:227], s[8:9], -v[17:18]
	v_add_f64 v[17:18], v[7:8], v[9:10]
	v_add_f64 v[7:8], v[7:8], -v[9:10]
	s_delay_alu instid0(VALU_DEP_3) | instskip(SKIP_1) | instid1(VALU_DEP_3)
	v_add_f64 v[15:16], v[15:16], v[23:24]
	v_add_f64 v[23:24], v[11:12], v[13:14]
	v_mul_f64 v[9:10], v[7:8], s[30:31]
	v_add_f64 v[11:12], v[11:12], -v[13:14]
	s_delay_alu instid0(VALU_DEP_2) | instskip(SKIP_1) | instid1(VALU_DEP_2)
	v_fma_f64 v[13:14], v[23:24], s[34:35], -v[9:10]
	v_fma_f64 v[9:10], v[23:24], s[34:35], v[9:10]
	v_add_f64 v[172:173], v[13:14], v[228:229]
	s_delay_alu instid0(VALU_DEP_4) | instskip(NEXT) | instid1(VALU_DEP_3)
	v_mul_f64 v[13:14], v[11:12], s[30:31]
	v_add_f64 v[208:209], v[9:10], v[232:233]
	s_delay_alu instid0(VALU_DEP_2) | instskip(SKIP_1) | instid1(VALU_DEP_2)
	v_fma_f64 v[9:10], v[17:18], s[34:35], -v[13:14]
	v_fma_f64 v[174:175], v[17:18], s[34:35], v[13:14]
	v_add_f64 v[210:211], v[9:10], v[234:235]
	v_mul_f64 v[9:10], v[7:8], s[36:37]
	s_delay_alu instid0(VALU_DEP_3) | instskip(NEXT) | instid1(VALU_DEP_2)
	v_add_f64 v[174:175], v[174:175], v[230:231]
	v_fma_f64 v[13:14], v[23:24], s[22:23], -v[9:10]
	v_fma_f64 v[9:10], v[23:24], s[22:23], v[9:10]
	s_delay_alu instid0(VALU_DEP_2) | instskip(SKIP_1) | instid1(VALU_DEP_3)
	v_add_f64 v[180:181], v[13:14], v[180:181]
	v_mul_f64 v[13:14], v[11:12], s[36:37]
	v_add_f64 v[176:177], v[9:10], v[176:177]
	s_delay_alu instid0(VALU_DEP_2) | instskip(SKIP_1) | instid1(VALU_DEP_2)
	v_fma_f64 v[9:10], v[17:18], s[22:23], -v[13:14]
	v_fma_f64 v[186:187], v[17:18], s[22:23], v[13:14]
	v_add_f64 v[178:179], v[9:10], v[178:179]
	v_mul_f64 v[9:10], v[7:8], s[28:29]
	s_delay_alu instid0(VALU_DEP_3) | instskip(NEXT) | instid1(VALU_DEP_2)
	v_add_f64 v[182:183], v[186:187], v[182:183]
	v_fma_f64 v[13:14], v[23:24], s[26:27], -v[9:10]
	v_fma_f64 v[9:10], v[23:24], s[26:27], v[9:10]
	s_delay_alu instid0(VALU_DEP_2) | instskip(SKIP_1) | instid1(VALU_DEP_3)
	v_add_f64 v[188:189], v[13:14], v[63:64]
	;; [unrolled: 13-line block ×4, first 2 shown]
	v_mul_f64 v[13:14], v[11:12], s[20:21]
	v_add_f64 v[200:201], v[9:10], v[47:48]
	s_delay_alu instid0(VALU_DEP_2) | instskip(SKIP_1) | instid1(VALU_DEP_2)
	v_fma_f64 v[9:10], v[17:18], s[18:19], -v[13:14]
	v_fma_f64 v[49:50], v[17:18], s[18:19], v[13:14]
	v_add_f64 v[202:203], v[9:10], v[45:46]
	v_mul_f64 v[9:10], v[7:8], s[24:25]
	s_delay_alu instid0(VALU_DEP_3) | instskip(NEXT) | instid1(VALU_DEP_2)
	v_add_f64 v[214:215], v[49:50], v[51:52]
	v_fma_f64 v[13:14], v[23:24], s[12:13], -v[9:10]
	v_fma_f64 v[9:10], v[23:24], s[12:13], v[9:10]
	s_delay_alu instid0(VALU_DEP_2) | instskip(SKIP_1) | instid1(VALU_DEP_1)
	v_add_f64 v[41:42], v[13:14], v[41:42]
	v_mul_f64 v[13:14], v[11:12], s[24:25]
	v_fma_f64 v[45:46], v[17:18], s[12:13], v[13:14]
	s_delay_alu instid0(VALU_DEP_1) | instskip(SKIP_2) | instid1(VALU_DEP_1)
	v_add_f64 v[43:44], v[45:46], v[43:44]
	v_add_f64 v[45:46], v[9:10], v[39:40]
	v_fma_f64 v[9:10], v[17:18], s[12:13], -v[13:14]
	v_add_f64 v[47:48], v[9:10], v[37:38]
	v_mul_f64 v[9:10], v[7:8], s[14:15]
	s_delay_alu instid0(VALU_DEP_1) | instskip(SKIP_1) | instid1(VALU_DEP_2)
	v_fma_f64 v[13:14], v[23:24], s[8:9], -v[9:10]
	v_fma_f64 v[9:10], v[23:24], s[8:9], v[9:10]
	v_add_f64 v[33:34], v[13:14], v[33:34]
	v_mul_f64 v[13:14], v[11:12], s[14:15]
	s_delay_alu instid0(VALU_DEP_1) | instskip(NEXT) | instid1(VALU_DEP_1)
	v_fma_f64 v[37:38], v[17:18], s[8:9], v[13:14]
	v_add_f64 v[35:36], v[37:38], v[35:36]
	v_add_f64 v[37:38], v[9:10], v[31:32]
	v_fma_f64 v[9:10], v[17:18], s[8:9], -v[13:14]
	v_mul_f64 v[13:14], v[7:8], s[46:47]
	s_delay_alu instid0(VALU_DEP_2) | instskip(NEXT) | instid1(VALU_DEP_2)
	v_add_f64 v[39:40], v[9:10], v[29:30]
	v_fma_f64 v[7:8], v[23:24], s[0:1], -v[13:14]
	s_delay_alu instid0(VALU_DEP_1) | instskip(SKIP_2) | instid1(VALU_DEP_2)
	v_add_f64 v[7:8], v[7:8], v[27:28]
	v_mul_f64 v[27:28], v[11:12], s[46:47]
	v_fma_f64 v[11:12], v[23:24], s[0:1], v[13:14]
	v_fma_f64 v[9:10], v[17:18], s[0:1], v[27:28]
	v_fma_f64 v[13:14], v[17:18], s[0:1], -v[27:28]
	s_delay_alu instid0(VALU_DEP_3) | instskip(SKIP_1) | instid1(VALU_DEP_4)
	v_add_f64 v[11:12], v[11:12], v[21:22]
	v_cmp_lt_u16_e64 s0, 33, v68
	v_add_f64 v[9:10], v[9:10], v[25:26]
	s_delay_alu instid0(VALU_DEP_4) | instskip(NEXT) | instid1(VALU_DEP_3)
	v_add_f64 v[13:14], v[13:14], v[15:16]
	v_cndmask_b32_e64 v15, 0, 0x242, s0
	s_delay_alu instid0(VALU_DEP_1) | instskip(NEXT) | instid1(VALU_DEP_1)
	v_add_nc_u32_e32 v6, v6, v15
	v_lshl_add_u32 v65, v6, 4, v120
	ds_store_b128 v65, v[168:171]
	ds_store_b128 v65, v[172:175] offset:544
	ds_store_b128 v65, v[180:183] offset:1088
	;; [unrolled: 1-line block ×16, first 2 shown]
	s_waitcnt lgkmcnt(0)
	s_barrier
	buffer_gl0_inv
	ds_load_b128 v[236:239], v67
	ds_load_b128 v[176:179], v67 offset:9248
	ds_load_b128 v[232:235], v67 offset:1088
	;; [unrolled: 1-line block ×15, first 2 shown]
	s_and_saveexec_b32 s0, vcc_lo
	s_cbranch_execz .LBB0_7
; %bb.6:
	ds_load_b128 v[208:211], v67 offset:8704
	ds_load_b128 v[204:207], v67 offset:17952
	v_dual_mov_b32 v5, v3 :: v_dual_mov_b32 v4, v2
.LBB0_7:
	s_or_b32 exec_lo, exec_lo, s0
	v_add_co_u32 v18, s0, s10, v246
	s_delay_alu instid0(VALU_DEP_1) | instskip(NEXT) | instid1(VALU_DEP_2)
	v_add_co_ci_u32_e64 v21, null, s11, 0, s0
	v_add_co_u32 v2, s0, 0x2000, v18
	s_delay_alu instid0(VALU_DEP_1) | instskip(SKIP_4) | instid1(VALU_DEP_2)
	v_add_co_ci_u32_e64 v3, s0, 0, v21, s0
	global_load_b128 v[122:125], v[2:3], off offset:784
	s_waitcnt vmcnt(0) lgkmcnt(14)
	v_mul_f64 v[6:7], v[178:179], v[124:125]
	v_mul_f64 v[8:9], v[176:177], v[124:125]
	v_fma_f64 v[6:7], v[176:177], v[122:123], -v[6:7]
	s_delay_alu instid0(VALU_DEP_2)
	v_fma_f64 v[8:9], v[178:179], v[122:123], v[8:9]
	global_load_b128 v[176:179], v[2:3], off offset:1872
	v_add_f64 v[6:7], v[236:237], -v[6:7]
	v_add_f64 v[8:9], v[238:239], -v[8:9]
	s_waitcnt vmcnt(0) lgkmcnt(12)
	v_mul_f64 v[10:11], v[182:183], v[178:179]
	s_delay_alu instid0(VALU_DEP_1) | instskip(SKIP_1) | instid1(VALU_DEP_2)
	v_fma_f64 v[14:15], v[180:181], v[176:177], -v[10:11]
	v_mul_f64 v[10:11], v[180:181], v[178:179]
	v_add_f64 v[14:15], v[232:233], -v[14:15]
	s_delay_alu instid0(VALU_DEP_2) | instskip(SKIP_2) | instid1(VALU_DEP_1)
	v_fma_f64 v[16:17], v[182:183], v[176:177], v[10:11]
	global_load_b128 v[180:183], v[2:3], off offset:2960
	v_add_f64 v[16:17], v[234:235], -v[16:17]
	v_fma_f64 v[23:24], v[234:235], 2.0, -v[16:17]
	s_waitcnt vmcnt(0) lgkmcnt(10)
	v_mul_f64 v[10:11], v[186:187], v[182:183]
	s_delay_alu instid0(VALU_DEP_1) | instskip(SKIP_1) | instid1(VALU_DEP_2)
	v_fma_f64 v[25:26], v[184:185], v[180:181], -v[10:11]
	v_mul_f64 v[10:11], v[184:185], v[182:183]
	v_add_f64 v[25:26], v[228:229], -v[25:26]
	s_delay_alu instid0(VALU_DEP_2) | instskip(SKIP_3) | instid1(VALU_DEP_1)
	v_fma_f64 v[27:28], v[186:187], v[180:181], v[10:11]
	global_load_b128 v[184:187], v[2:3], off offset:4048
	v_fma_f64 v[29:30], v[228:229], 2.0, -v[25:26]
	v_add_f64 v[27:28], v[230:231], -v[27:28]
	v_fma_f64 v[31:32], v[230:231], 2.0, -v[27:28]
	s_waitcnt vmcnt(0) lgkmcnt(8)
	v_mul_f64 v[10:11], v[188:189], v[186:187]
	v_mul_f64 v[2:3], v[190:191], v[186:187]
	s_delay_alu instid0(VALU_DEP_2) | instskip(SKIP_1) | instid1(VALU_DEP_1)
	v_fma_f64 v[35:36], v[190:191], v[184:185], v[10:11]
	v_add_co_u32 v10, s0, 0x3000, v18
	v_add_co_ci_u32_e64 v11, s0, 0, v21, s0
	s_delay_alu instid0(VALU_DEP_4) | instskip(SKIP_4) | instid1(VALU_DEP_3)
	v_fma_f64 v[2:3], v[188:189], v[184:185], -v[2:3]
	global_load_b128 v[188:191], v[10:11], off offset:1040
	v_add_f64 v[35:36], v[226:227], -v[35:36]
	v_add_f64 v[33:34], v[224:225], -v[2:3]
	v_lshlrev_b64 v[2:3], 4, v[4:5]
	v_fma_f64 v[39:40], v[226:227], 2.0, -v[35:36]
	s_delay_alu instid0(VALU_DEP_3) | instskip(SKIP_2) | instid1(VALU_DEP_1)
	v_fma_f64 v[37:38], v[224:225], 2.0, -v[33:34]
	s_waitcnt vmcnt(0) lgkmcnt(6)
	v_mul_f64 v[12:13], v[194:195], v[190:191]
	v_fma_f64 v[41:42], v[192:193], v[188:189], -v[12:13]
	v_mul_f64 v[12:13], v[192:193], v[190:191]
	s_delay_alu instid0(VALU_DEP_2) | instskip(NEXT) | instid1(VALU_DEP_2)
	v_add_f64 v[41:42], v[220:221], -v[41:42]
	v_fma_f64 v[43:44], v[194:195], v[188:189], v[12:13]
	global_load_b128 v[192:195], v[10:11], off offset:2128
	v_fma_f64 v[45:46], v[220:221], 2.0, -v[41:42]
	v_add_f64 v[43:44], v[222:223], -v[43:44]
	s_delay_alu instid0(VALU_DEP_1) | instskip(SKIP_2) | instid1(VALU_DEP_1)
	v_fma_f64 v[47:48], v[222:223], 2.0, -v[43:44]
	s_waitcnt vmcnt(0) lgkmcnt(4)
	v_mul_f64 v[12:13], v[198:199], v[194:195]
	v_fma_f64 v[49:50], v[196:197], v[192:193], -v[12:13]
	v_mul_f64 v[12:13], v[196:197], v[194:195]
	s_delay_alu instid0(VALU_DEP_2) | instskip(NEXT) | instid1(VALU_DEP_2)
	v_add_f64 v[49:50], v[216:217], -v[49:50]
	v_fma_f64 v[51:52], v[198:199], v[192:193], v[12:13]
	global_load_b128 v[196:199], v[10:11], off offset:3216
	v_fma_f64 v[12:13], v[238:239], 2.0, -v[8:9]
	v_fma_f64 v[53:54], v[216:217], 2.0, -v[49:50]
	v_add_f64 v[51:52], v[218:219], -v[51:52]
	s_delay_alu instid0(VALU_DEP_1) | instskip(SKIP_2) | instid1(VALU_DEP_1)
	v_fma_f64 v[55:56], v[218:219], 2.0, -v[51:52]
	s_waitcnt vmcnt(0) lgkmcnt(2)
	v_mul_f64 v[10:11], v[202:203], v[198:199]
	v_fma_f64 v[57:58], v[200:201], v[196:197], -v[10:11]
	v_mul_f64 v[10:11], v[200:201], v[198:199]
	s_delay_alu instid0(VALU_DEP_2) | instskip(NEXT) | instid1(VALU_DEP_2)
	v_add_f64 v[57:58], v[212:213], -v[57:58]
	v_fma_f64 v[59:60], v[202:203], v[196:197], v[10:11]
	v_add_co_u32 v10, s0, 0x4000, v18
	s_delay_alu instid0(VALU_DEP_1) | instskip(SKIP_1) | instid1(VALU_DEP_1)
	v_add_co_ci_u32_e64 v11, s0, 0, v21, s0
	v_add_co_u32 v2, s0, s10, v2
	v_add_co_ci_u32_e64 v3, s0, s11, v3, s0
	global_load_b128 v[200:203], v[10:11], off offset:208
	v_add_co_u32 v2, s0, 0x2000, v2
	s_delay_alu instid0(VALU_DEP_1)
	v_add_co_ci_u32_e64 v3, s0, 0, v3, s0
	scratch_load_b32 v18, off, off          ; 4-byte Folded Reload
	v_fma_f64 v[21:22], v[232:233], 2.0, -v[14:15]
	global_load_b128 v[68:71], v[2:3], off offset:784
	v_fma_f64 v[61:62], v[212:213], 2.0, -v[57:58]
	v_add_f64 v[59:60], v[214:215], -v[59:60]
	s_delay_alu instid0(VALU_DEP_1)
	v_fma_f64 v[63:64], v[214:215], 2.0, -v[59:60]
	s_waitcnt vmcnt(2) lgkmcnt(0)
	v_mul_f64 v[10:11], v[242:243], v[202:203]
	s_waitcnt vmcnt(1)
	v_lshl_add_u32 v66, v18, 4, v120
	s_waitcnt vmcnt(0)
	v_mul_f64 v[2:3], v[206:207], v[70:71]
	v_mul_f64 v[4:5], v[204:205], v[70:71]
	scratch_store_b128 off, v[68:71], off offset:436 ; 16-byte Folded Spill
	v_fma_f64 v[246:247], v[240:241], v[200:201], -v[10:11]
	v_mul_f64 v[10:11], v[240:241], v[202:203]
	v_fma_f64 v[2:3], v[204:205], v[68:69], -v[2:3]
	v_fma_f64 v[4:5], v[206:207], v[68:69], v[4:5]
	s_delay_alu instid0(VALU_DEP_4) | instskip(NEXT) | instid1(VALU_DEP_4)
	v_add_f64 v[212:213], v[172:173], -v[246:247]
	v_fma_f64 v[240:241], v[242:243], v[200:201], v[10:11]
	v_fma_f64 v[10:11], v[236:237], 2.0, -v[6:7]
	v_add_f64 v[204:205], v[208:209], -v[2:3]
	v_add_f64 v[206:207], v[210:211], -v[4:5]
	v_fma_f64 v[216:217], v[172:173], 2.0, -v[212:213]
	v_add_f64 v[214:215], v[174:175], -v[240:241]
	s_delay_alu instid0(VALU_DEP_1)
	v_fma_f64 v[218:219], v[174:175], 2.0, -v[214:215]
	ds_store_b128 v66, v[6:9] offset:9248
	ds_store_b128 v67, v[10:13]
	ds_store_b128 v67, v[21:24] offset:1088
	ds_store_b128 v66, v[14:17] offset:10336
	;; [unrolled: 1-line block ×14, first 2 shown]
	s_and_saveexec_b32 s0, vcc_lo
	s_cbranch_execz .LBB0_9
; %bb.8:
	v_fma_f64 v[4:5], v[210:211], 2.0, -v[206:207]
	v_fma_f64 v[2:3], v[208:209], 2.0, -v[204:205]
	ds_store_b128 v67, v[2:5] offset:8704
	ds_store_b128 v66, v[204:207] offset:17952
.LBB0_9:
	s_or_b32 exec_lo, exec_lo, s0
	s_waitcnt lgkmcnt(0)
	s_waitcnt_vscnt null, 0x0
	s_barrier
	buffer_gl0_inv
	global_load_b128 v[6:9], v[0:1], off offset:2112
	ds_load_b128 v[2:5], v67
	v_add_co_u32 v12, s0, 0x4840, v244
	s_delay_alu instid0(VALU_DEP_1)
	v_add_co_ci_u32_e64 v13, s0, 0, v245, s0
	s_mov_b32 s12, 0x923c349f
	s_mov_b32 s14, 0xc61f0d01
	;; [unrolled: 1-line block ×47, first 2 shown]
	s_waitcnt vmcnt(0) lgkmcnt(0)
	v_mul_f64 v[0:1], v[4:5], v[8:9]
	s_delay_alu instid0(VALU_DEP_1) | instskip(SKIP_1) | instid1(VALU_DEP_1)
	v_fma_f64 v[0:1], v[2:3], v[6:7], -v[0:1]
	v_mul_f64 v[2:3], v[2:3], v[8:9]
	v_fma_f64 v[2:3], v[4:5], v[6:7], v[2:3]
	global_load_b128 v[4:7], v[12:13], off offset:1088
	ds_store_b128 v67, v[0:3]
	ds_load_b128 v[0:3], v67 offset:1088
	s_waitcnt vmcnt(0) lgkmcnt(0)
	v_mul_f64 v[8:9], v[2:3], v[6:7]
	s_delay_alu instid0(VALU_DEP_1) | instskip(SKIP_1) | instid1(VALU_DEP_1)
	v_fma_f64 v[8:9], v[0:1], v[4:5], -v[8:9]
	v_mul_f64 v[0:1], v[0:1], v[6:7]
	v_fma_f64 v[10:11], v[2:3], v[4:5], v[0:1]
	global_load_b128 v[4:7], v[12:13], off offset:2176
	ds_load_b128 v[0:3], v67 offset:2176
	ds_store_b128 v67, v[8:11] offset:1088
	s_waitcnt vmcnt(0) lgkmcnt(1)
	v_mul_f64 v[8:9], v[2:3], v[6:7]
	s_delay_alu instid0(VALU_DEP_1) | instskip(SKIP_1) | instid1(VALU_DEP_1)
	v_fma_f64 v[8:9], v[0:1], v[4:5], -v[8:9]
	v_mul_f64 v[0:1], v[0:1], v[6:7]
	v_fma_f64 v[10:11], v[2:3], v[4:5], v[0:1]
	global_load_b128 v[4:7], v[12:13], off offset:3264
	ds_load_b128 v[0:3], v67 offset:3264
	v_add_co_u32 v12, s0, 0x5000, v244
	s_delay_alu instid0(VALU_DEP_1) | instskip(SKIP_3) | instid1(VALU_DEP_1)
	v_add_co_ci_u32_e64 v13, s0, 0, v245, s0
	ds_store_b128 v67, v[8:11] offset:2176
	s_waitcnt vmcnt(0) lgkmcnt(1)
	v_mul_f64 v[8:9], v[2:3], v[6:7]
	v_fma_f64 v[8:9], v[0:1], v[4:5], -v[8:9]
	v_mul_f64 v[0:1], v[0:1], v[6:7]
	s_delay_alu instid0(VALU_DEP_1)
	v_fma_f64 v[10:11], v[2:3], v[4:5], v[0:1]
	global_load_b128 v[4:7], v[12:13], off offset:2368
	ds_load_b128 v[0:3], v67 offset:4352
	ds_store_b128 v67, v[8:11] offset:3264
	s_waitcnt vmcnt(0) lgkmcnt(1)
	v_mul_f64 v[8:9], v[2:3], v[6:7]
	s_delay_alu instid0(VALU_DEP_1) | instskip(SKIP_1) | instid1(VALU_DEP_1)
	v_fma_f64 v[8:9], v[0:1], v[4:5], -v[8:9]
	v_mul_f64 v[0:1], v[0:1], v[6:7]
	v_fma_f64 v[10:11], v[2:3], v[4:5], v[0:1]
	global_load_b128 v[4:7], v[12:13], off offset:3456
	ds_load_b128 v[0:3], v67 offset:5440
	v_add_co_u32 v12, s0, 0x6000, v244
	s_delay_alu instid0(VALU_DEP_1) | instskip(SKIP_3) | instid1(VALU_DEP_1)
	v_add_co_ci_u32_e64 v13, s0, 0, v245, s0
	ds_store_b128 v67, v[8:11] offset:4352
	s_waitcnt vmcnt(0) lgkmcnt(1)
	v_mul_f64 v[8:9], v[2:3], v[6:7]
	v_fma_f64 v[8:9], v[0:1], v[4:5], -v[8:9]
	v_mul_f64 v[0:1], v[0:1], v[6:7]
	s_delay_alu instid0(VALU_DEP_1)
	v_fma_f64 v[10:11], v[2:3], v[4:5], v[0:1]
	global_load_b128 v[4:7], v[12:13], off offset:448
	ds_load_b128 v[0:3], v67 offset:6528
	ds_store_b128 v67, v[8:11] offset:5440
	s_waitcnt vmcnt(0) lgkmcnt(1)
	v_mul_f64 v[8:9], v[2:3], v[6:7]
	s_delay_alu instid0(VALU_DEP_1) | instskip(SKIP_1) | instid1(VALU_DEP_1)
	v_fma_f64 v[8:9], v[0:1], v[4:5], -v[8:9]
	v_mul_f64 v[0:1], v[0:1], v[6:7]
	v_fma_f64 v[10:11], v[2:3], v[4:5], v[0:1]
	global_load_b128 v[4:7], v[12:13], off offset:1536
	ds_load_b128 v[0:3], v67 offset:7616
	ds_store_b128 v67, v[8:11] offset:6528
	s_waitcnt vmcnt(0) lgkmcnt(1)
	v_mul_f64 v[8:9], v[2:3], v[6:7]
	s_delay_alu instid0(VALU_DEP_1) | instskip(SKIP_1) | instid1(VALU_DEP_1)
	v_fma_f64 v[8:9], v[0:1], v[4:5], -v[8:9]
	v_mul_f64 v[0:1], v[0:1], v[6:7]
	;; [unrolled: 9-line block ×3, first 2 shown]
	v_fma_f64 v[10:11], v[2:3], v[4:5], v[0:1]
	global_load_b128 v[4:7], v[12:13], off offset:3712
	ds_load_b128 v[0:3], v67 offset:9792
	v_add_co_u32 v12, s0, 0x7000, v244
	s_delay_alu instid0(VALU_DEP_1) | instskip(SKIP_3) | instid1(VALU_DEP_1)
	v_add_co_ci_u32_e64 v13, s0, 0, v245, s0
	ds_store_b128 v67, v[8:11] offset:8704
	s_waitcnt vmcnt(0) lgkmcnt(1)
	v_mul_f64 v[8:9], v[2:3], v[6:7]
	v_fma_f64 v[8:9], v[0:1], v[4:5], -v[8:9]
	v_mul_f64 v[0:1], v[0:1], v[6:7]
	s_delay_alu instid0(VALU_DEP_1)
	v_fma_f64 v[10:11], v[2:3], v[4:5], v[0:1]
	global_load_b128 v[4:7], v[12:13], off offset:704
	ds_load_b128 v[0:3], v67 offset:10880
	ds_store_b128 v67, v[8:11] offset:9792
	s_waitcnt vmcnt(0) lgkmcnt(1)
	v_mul_f64 v[8:9], v[2:3], v[6:7]
	s_delay_alu instid0(VALU_DEP_1) | instskip(SKIP_1) | instid1(VALU_DEP_1)
	v_fma_f64 v[8:9], v[0:1], v[4:5], -v[8:9]
	v_mul_f64 v[0:1], v[0:1], v[6:7]
	v_fma_f64 v[10:11], v[2:3], v[4:5], v[0:1]
	global_load_b128 v[4:7], v[12:13], off offset:1792
	ds_load_b128 v[0:3], v67 offset:11968
	ds_store_b128 v67, v[8:11] offset:10880
	s_waitcnt vmcnt(0) lgkmcnt(1)
	v_mul_f64 v[8:9], v[2:3], v[6:7]
	s_delay_alu instid0(VALU_DEP_1) | instskip(SKIP_1) | instid1(VALU_DEP_1)
	v_fma_f64 v[8:9], v[0:1], v[4:5], -v[8:9]
	v_mul_f64 v[0:1], v[0:1], v[6:7]
	;; [unrolled: 9-line block ×3, first 2 shown]
	v_fma_f64 v[10:11], v[2:3], v[4:5], v[0:1]
	global_load_b128 v[4:7], v[12:13], off offset:3968
	ds_load_b128 v[0:3], v67 offset:14144
	v_add_co_u32 v12, s0, 0x8000, v244
	s_delay_alu instid0(VALU_DEP_1) | instskip(SKIP_4) | instid1(VALU_DEP_1)
	v_add_co_ci_u32_e64 v13, s0, 0, v245, s0
	s_mov_b32 s0, s10
	ds_store_b128 v67, v[8:11] offset:13056
	s_waitcnt vmcnt(0) lgkmcnt(1)
	v_mul_f64 v[8:9], v[2:3], v[6:7]
	v_fma_f64 v[8:9], v[0:1], v[4:5], -v[8:9]
	v_mul_f64 v[0:1], v[0:1], v[6:7]
	s_delay_alu instid0(VALU_DEP_1)
	v_fma_f64 v[10:11], v[2:3], v[4:5], v[0:1]
	global_load_b128 v[4:7], v[12:13], off offset:960
	ds_load_b128 v[0:3], v67 offset:15232
	ds_store_b128 v67, v[8:11] offset:14144
	s_waitcnt vmcnt(0) lgkmcnt(1)
	v_mul_f64 v[8:9], v[2:3], v[6:7]
	s_delay_alu instid0(VALU_DEP_1) | instskip(SKIP_1) | instid1(VALU_DEP_1)
	v_fma_f64 v[8:9], v[0:1], v[4:5], -v[8:9]
	v_mul_f64 v[0:1], v[0:1], v[6:7]
	v_fma_f64 v[10:11], v[2:3], v[4:5], v[0:1]
	global_load_b128 v[4:7], v[12:13], off offset:2048
	ds_load_b128 v[0:3], v67 offset:16320
	ds_store_b128 v67, v[8:11] offset:15232
	s_waitcnt vmcnt(0) lgkmcnt(1)
	v_mul_f64 v[8:9], v[2:3], v[6:7]
	s_delay_alu instid0(VALU_DEP_1) | instskip(SKIP_1) | instid1(VALU_DEP_1)
	v_fma_f64 v[8:9], v[0:1], v[4:5], -v[8:9]
	v_mul_f64 v[0:1], v[0:1], v[6:7]
	;; [unrolled: 9-line block ×3, first 2 shown]
	v_fma_f64 v[10:11], v[2:3], v[4:5], v[0:1]
	ds_store_b128 v67, v[8:11] offset:17408
	s_waitcnt lgkmcnt(0)
	s_barrier
	buffer_gl0_inv
	ds_load_b128 v[0:3], v67
	ds_load_b128 v[4:7], v67 offset:1088
	ds_load_b128 v[8:11], v67 offset:2176
	;; [unrolled: 1-line block ×16, first 2 shown]
	s_waitcnt lgkmcnt(0)
	s_barrier
	buffer_gl0_inv
	v_add_f64 v[41:42], v[2:3], v[6:7]
	v_add_f64 v[16:17], v[0:1], v[4:5]
	s_delay_alu instid0(VALU_DEP_2) | instskip(NEXT) | instid1(VALU_DEP_2)
	v_add_f64 v[41:42], v[41:42], v[10:11]
	v_add_f64 v[16:17], v[16:17], v[8:9]
	s_delay_alu instid0(VALU_DEP_2) | instskip(NEXT) | instid1(VALU_DEP_2)
	;; [unrolled: 3-line block ×14, first 2 shown]
	v_add_f64 v[41:42], v[41:42], v[35:36]
	v_add_f64 v[16:17], v[16:17], v[33:34]
	s_delay_alu instid0(VALU_DEP_2) | instskip(SKIP_2) | instid1(VALU_DEP_4)
	v_add_f64 v[170:171], v[41:42], v[39:40]
	v_add_f64 v[41:42], v[6:7], v[39:40]
	v_add_f64 v[6:7], v[6:7], -v[39:40]
	v_add_f64 v[168:169], v[16:17], v[37:38]
	v_add_f64 v[16:17], v[4:5], v[37:38]
	v_add_f64 v[4:5], v[4:5], -v[37:38]
	v_mul_f64 v[254:255], v[41:42], s[14:15]
	v_mul_f64 v[250:251], v[6:7], s[12:13]
	;; [unrolled: 1-line block ×13, first 2 shown]
	v_fma_f64 v[208:209], v[4:5], s[16:17], v[254:255]
	v_fma_f64 v[252:253], v[16:17], s[14:15], v[250:251]
	v_fma_f64 v[210:211], v[16:17], s[14:15], -v[250:251]
	v_fma_f64 v[250:251], v[4:5], s[12:13], v[254:255]
	v_mul_f64 v[254:255], v[6:7], s[24:25]
	v_fma_f64 v[39:40], v[16:17], s[42:43], v[37:38]
	v_fma_f64 v[37:38], v[16:17], s[42:43], -v[37:38]
	v_fma_f64 v[49:50], v[16:17], s[30:31], v[47:48]
	v_fma_f64 v[47:48], v[16:17], s[30:31], -v[47:48]
	;; [unrolled: 2-line block ×4, first 2 shown]
	v_fma_f64 v[45:46], v[4:5], s[44:45], v[43:44]
	v_fma_f64 v[43:44], v[4:5], s[46:47], v[43:44]
	;; [unrolled: 1-line block ×14, first 2 shown]
	v_add_f64 v[208:209], v[2:3], v[208:209]
	v_add_f64 v[252:253], v[0:1], v[252:253]
	;; [unrolled: 1-line block ×4, first 2 shown]
	v_fma_f64 v[172:173], v[16:17], s[26:27], v[254:255]
	v_fma_f64 v[70:71], v[16:17], s[26:27], -v[254:255]
	v_mul_f64 v[254:255], v[6:7], s[38:39]
	v_mul_f64 v[6:7], v[6:7], s[50:51]
	v_add_f64 v[39:40], v[0:1], v[39:40]
	v_add_f64 v[37:38], v[0:1], v[37:38]
	;; [unrolled: 1-line block ×23, first 2 shown]
	v_add_f64 v[8:9], v[8:9], -v[33:34]
	v_add_f64 v[172:173], v[0:1], v[172:173]
	v_add_f64 v[70:71], v[0:1], v[70:71]
	v_fma_f64 v[72:73], v[16:17], s[40:41], v[254:255]
	v_fma_f64 v[78:79], v[16:17], s[40:41], -v[254:255]
	v_fma_f64 v[254:255], v[16:17], s[52:53], v[6:7]
	v_fma_f64 v[6:7], v[16:17], s[52:53], -v[6:7]
	s_delay_alu instid0(VALU_DEP_4) | instskip(NEXT) | instid1(VALU_DEP_4)
	v_add_f64 v[72:73], v[0:1], v[72:73]
	v_add_f64 v[78:79], v[0:1], v[78:79]
	s_delay_alu instid0(VALU_DEP_4) | instskip(NEXT) | instid1(VALU_DEP_4)
	v_add_f64 v[254:255], v[0:1], v[254:255]
	v_add_f64 v[0:1], v[0:1], v[6:7]
	;; [unrolled: 1-line block ×3, first 2 shown]
	v_add_f64 v[10:11], v[10:11], -v[35:36]
	s_delay_alu instid0(VALU_DEP_2) | instskip(NEXT) | instid1(VALU_DEP_2)
	v_mul_f64 v[35:36], v[6:7], s[30:31]
	v_mul_f64 v[16:17], v[10:11], s[36:37]
	s_delay_alu instid0(VALU_DEP_1) | instskip(SKIP_1) | instid1(VALU_DEP_2)
	v_fma_f64 v[33:34], v[4:5], s[30:31], v[16:17]
	v_fma_f64 v[16:17], v[4:5], s[30:31], -v[16:17]
	v_add_f64 v[33:34], v[33:34], v[39:40]
	s_delay_alu instid0(VALU_DEP_2) | instskip(SKIP_3) | instid1(VALU_DEP_3)
	v_add_f64 v[16:17], v[16:17], v[37:38]
	v_mul_f64 v[37:38], v[10:11], s[10:11]
	v_fma_f64 v[39:40], v[8:9], s[34:35], v[35:36]
	v_fma_f64 v[35:36], v[8:9], s[36:37], v[35:36]
	;; [unrolled: 1-line block ×3, first 2 shown]
	v_fma_f64 v[37:38], v[4:5], s[8:9], -v[37:38]
	s_delay_alu instid0(VALU_DEP_3)
	v_add_f64 v[35:36], v[35:36], v[43:44]
	v_mul_f64 v[43:44], v[6:7], s[8:9]
	v_add_f64 v[39:40], v[39:40], v[45:46]
	v_add_f64 v[41:42], v[41:42], v[49:50]
	;; [unrolled: 1-line block ×3, first 2 shown]
	v_mul_f64 v[47:48], v[10:11], s[24:25]
	v_fma_f64 v[45:46], v[8:9], s[0:1], v[43:44]
	v_fma_f64 v[43:44], v[8:9], s[10:11], v[43:44]
	s_delay_alu instid0(VALU_DEP_3) | instskip(SKIP_1) | instid1(VALU_DEP_3)
	v_fma_f64 v[49:50], v[4:5], s[26:27], v[47:48]
	v_fma_f64 v[47:48], v[4:5], s[26:27], -v[47:48]
	v_add_f64 v[43:44], v[43:44], v[51:52]
	v_mul_f64 v[51:52], v[6:7], s[26:27]
	v_add_f64 v[45:46], v[45:46], v[53:54]
	v_add_f64 v[49:50], v[49:50], v[57:58]
	;; [unrolled: 1-line block ×3, first 2 shown]
	v_mul_f64 v[55:56], v[10:11], s[50:51]
	v_fma_f64 v[53:54], v[8:9], s[28:29], v[51:52]
	v_fma_f64 v[51:52], v[8:9], s[24:25], v[51:52]
	s_delay_alu instid0(VALU_DEP_3) | instskip(SKIP_1) | instid1(VALU_DEP_3)
	v_fma_f64 v[57:58], v[4:5], s[52:53], v[55:56]
	v_fma_f64 v[55:56], v[4:5], s[52:53], -v[55:56]
	v_add_f64 v[51:52], v[51:52], v[59:60]
	v_mul_f64 v[59:60], v[6:7], s[52:53]
	v_add_f64 v[53:54], v[53:54], v[61:62]
	v_add_f64 v[57:58], v[57:58], v[244:245]
	;; [unrolled: 1-line block ×3, first 2 shown]
	v_mul_f64 v[63:64], v[10:11], s[48:49]
	v_fma_f64 v[61:62], v[8:9], s[54:55], v[59:60]
	v_fma_f64 v[59:60], v[8:9], s[50:51], v[59:60]
	v_mul_f64 v[244:245], v[6:7], s[40:41]
	s_delay_alu instid0(VALU_DEP_4) | instskip(SKIP_1) | instid1(VALU_DEP_4)
	v_fma_f64 v[82:83], v[4:5], s[40:41], v[63:64]
	v_fma_f64 v[63:64], v[4:5], s[40:41], -v[63:64]
	v_add_f64 v[59:60], v[59:60], v[246:247]
	s_delay_alu instid0(VALU_DEP_4)
	v_fma_f64 v[246:247], v[8:9], s[38:39], v[244:245]
	v_add_f64 v[61:62], v[61:62], v[248:249]
	v_add_f64 v[82:83], v[82:83], v[252:253]
	;; [unrolled: 1-line block ×3, first 2 shown]
	v_fma_f64 v[210:211], v[8:9], s[48:49], v[244:245]
	v_mul_f64 v[244:245], v[10:11], s[16:17]
	v_add_f64 v[208:209], v[246:247], v[208:209]
	s_delay_alu instid0(VALU_DEP_3) | instskip(NEXT) | instid1(VALU_DEP_3)
	v_add_f64 v[210:211], v[210:211], v[250:251]
	v_fma_f64 v[246:247], v[4:5], s[14:15], v[244:245]
	v_fma_f64 v[244:245], v[4:5], s[14:15], -v[244:245]
	s_delay_alu instid0(VALU_DEP_2) | instskip(SKIP_1) | instid1(VALU_DEP_3)
	v_add_f64 v[172:173], v[246:247], v[172:173]
	v_mul_f64 v[246:247], v[6:7], s[14:15]
	v_add_f64 v[70:71], v[244:245], v[70:71]
	s_delay_alu instid0(VALU_DEP_2) | instskip(SKIP_1) | instid1(VALU_DEP_2)
	v_fma_f64 v[244:245], v[8:9], s[16:17], v[246:247]
	v_fma_f64 v[248:249], v[8:9], s[12:13], v[246:247]
	v_add_f64 v[174:175], v[244:245], v[174:175]
	v_mul_f64 v[244:245], v[10:11], s[20:21]
	v_mul_f64 v[10:11], v[10:11], s[44:45]
	s_delay_alu instid0(VALU_DEP_4) | instskip(NEXT) | instid1(VALU_DEP_3)
	v_add_f64 v[68:69], v[248:249], v[68:69]
	v_fma_f64 v[246:247], v[4:5], s[18:19], v[244:245]
	v_fma_f64 v[244:245], v[4:5], s[18:19], -v[244:245]
	s_delay_alu instid0(VALU_DEP_2) | instskip(SKIP_1) | instid1(VALU_DEP_3)
	v_add_f64 v[72:73], v[246:247], v[72:73]
	v_mul_f64 v[246:247], v[6:7], s[18:19]
	v_add_f64 v[78:79], v[244:245], v[78:79]
	v_mul_f64 v[6:7], v[6:7], s[42:43]
	s_delay_alu instid0(VALU_DEP_3) | instskip(SKIP_1) | instid1(VALU_DEP_3)
	v_fma_f64 v[244:245], v[8:9], s[20:21], v[246:247]
	v_fma_f64 v[248:249], v[8:9], s[22:23], v[246:247]
	;; [unrolled: 1-line block ×3, first 2 shown]
	s_delay_alu instid0(VALU_DEP_3)
	v_add_f64 v[74:75], v[244:245], v[74:75]
	v_fma_f64 v[244:245], v[4:5], s[42:43], v[10:11]
	v_fma_f64 v[4:5], v[4:5], s[42:43], -v[10:11]
	v_add_f64 v[10:11], v[14:15], -v[31:32]
	v_add_f64 v[76:77], v[248:249], v[76:77]
	v_add_f64 v[80:81], v[246:247], v[80:81]
	v_add_f64 v[244:245], v[244:245], v[254:255]
	v_add_f64 v[0:1], v[4:5], v[0:1]
	v_fma_f64 v[4:5], v[8:9], s[44:45], v[6:7]
	v_add_f64 v[6:7], v[14:15], v[31:32]
	v_add_f64 v[8:9], v[12:13], -v[29:30]
	s_delay_alu instid0(VALU_DEP_3) | instskip(SKIP_3) | instid1(VALU_DEP_2)
	v_add_f64 v[2:3], v[4:5], v[2:3]
	v_add_f64 v[4:5], v[12:13], v[29:30]
	v_mul_f64 v[12:13], v[10:11], s[22:23]
	v_mul_f64 v[29:30], v[6:7], s[18:19]
	v_fma_f64 v[14:15], v[4:5], s[18:19], v[12:13]
	v_fma_f64 v[12:13], v[4:5], s[18:19], -v[12:13]
	s_delay_alu instid0(VALU_DEP_3) | instskip(NEXT) | instid1(VALU_DEP_3)
	v_fma_f64 v[31:32], v[8:9], s[20:21], v[29:30]
	v_add_f64 v[14:15], v[14:15], v[33:34]
	s_delay_alu instid0(VALU_DEP_3) | instskip(SKIP_3) | instid1(VALU_DEP_3)
	v_add_f64 v[12:13], v[12:13], v[16:17]
	v_fma_f64 v[16:17], v[8:9], s[22:23], v[29:30]
	v_mul_f64 v[29:30], v[10:11], s[24:25]
	v_add_f64 v[31:32], v[31:32], v[39:40]
	v_add_f64 v[16:17], v[16:17], v[35:36]
	s_delay_alu instid0(VALU_DEP_3) | instskip(SKIP_2) | instid1(VALU_DEP_3)
	v_fma_f64 v[33:34], v[4:5], s[26:27], v[29:30]
	v_fma_f64 v[29:30], v[4:5], s[26:27], -v[29:30]
	v_mul_f64 v[35:36], v[6:7], s[26:27]
	v_add_f64 v[33:34], v[33:34], v[41:42]
	s_delay_alu instid0(VALU_DEP_3) | instskip(SKIP_1) | instid1(VALU_DEP_4)
	v_add_f64 v[29:30], v[29:30], v[37:38]
	v_mul_f64 v[37:38], v[10:11], s[54:55]
	v_fma_f64 v[39:40], v[8:9], s[28:29], v[35:36]
	v_fma_f64 v[35:36], v[8:9], s[24:25], v[35:36]
	s_delay_alu instid0(VALU_DEP_3) | instskip(SKIP_1) | instid1(VALU_DEP_3)
	v_fma_f64 v[41:42], v[4:5], s[52:53], v[37:38]
	v_fma_f64 v[37:38], v[4:5], s[52:53], -v[37:38]
	v_add_f64 v[35:36], v[35:36], v[43:44]
	v_mul_f64 v[43:44], v[6:7], s[52:53]
	v_add_f64 v[39:40], v[39:40], v[45:46]
	v_add_f64 v[41:42], v[41:42], v[49:50]
	v_add_f64 v[37:38], v[37:38], v[47:48]
	v_mul_f64 v[47:48], v[10:11], s[16:17]
	v_fma_f64 v[45:46], v[8:9], s[50:51], v[43:44]
	v_fma_f64 v[43:44], v[8:9], s[54:55], v[43:44]
	s_delay_alu instid0(VALU_DEP_3) | instskip(SKIP_1) | instid1(VALU_DEP_3)
	v_fma_f64 v[49:50], v[4:5], s[14:15], v[47:48]
	v_fma_f64 v[47:48], v[4:5], s[14:15], -v[47:48]
	v_add_f64 v[43:44], v[43:44], v[51:52]
	v_mul_f64 v[51:52], v[6:7], s[14:15]
	v_add_f64 v[45:46], v[45:46], v[53:54]
	v_add_f64 v[49:50], v[49:50], v[57:58]
	;; [unrolled: 11-line block ×3, first 2 shown]
	v_add_f64 v[55:56], v[55:56], v[63:64]
	v_mul_f64 v[63:64], v[10:11], s[46:47]
	v_fma_f64 v[61:62], v[8:9], s[36:37], v[59:60]
	v_fma_f64 v[59:60], v[8:9], s[34:35], v[59:60]
	s_delay_alu instid0(VALU_DEP_3) | instskip(SKIP_1) | instid1(VALU_DEP_4)
	v_fma_f64 v[82:83], v[4:5], s[42:43], v[63:64]
	v_fma_f64 v[63:64], v[4:5], s[42:43], -v[63:64]
	v_add_f64 v[61:62], v[61:62], v[208:209]
	s_delay_alu instid0(VALU_DEP_4) | instskip(NEXT) | instid1(VALU_DEP_4)
	v_add_f64 v[59:60], v[59:60], v[210:211]
	v_add_f64 v[82:83], v[82:83], v[172:173]
	v_mul_f64 v[172:173], v[6:7], s[42:43]
	v_add_f64 v[63:64], v[63:64], v[70:71]
	s_delay_alu instid0(VALU_DEP_2) | instskip(SKIP_3) | instid1(VALU_DEP_4)
	v_fma_f64 v[208:209], v[8:9], s[44:45], v[172:173]
	v_fma_f64 v[70:71], v[8:9], s[46:47], v[172:173]
	v_mul_f64 v[172:173], v[10:11], s[10:11]
	v_mul_f64 v[10:11], v[10:11], s[38:39]
	v_add_f64 v[68:69], v[208:209], v[68:69]
	s_delay_alu instid0(VALU_DEP_4) | instskip(NEXT) | instid1(VALU_DEP_4)
	v_add_f64 v[70:71], v[70:71], v[174:175]
	v_fma_f64 v[174:175], v[4:5], s[8:9], v[172:173]
	v_fma_f64 v[172:173], v[4:5], s[8:9], -v[172:173]
	s_delay_alu instid0(VALU_DEP_2) | instskip(SKIP_1) | instid1(VALU_DEP_3)
	v_add_f64 v[72:73], v[174:175], v[72:73]
	v_mul_f64 v[174:175], v[6:7], s[8:9]
	v_add_f64 v[78:79], v[172:173], v[78:79]
	v_mul_f64 v[6:7], v[6:7], s[40:41]
	s_delay_alu instid0(VALU_DEP_3) | instskip(SKIP_1) | instid1(VALU_DEP_3)
	v_fma_f64 v[172:173], v[8:9], s[10:11], v[174:175]
	v_fma_f64 v[208:209], v[8:9], s[0:1], v[174:175]
	;; [unrolled: 1-line block ×3, first 2 shown]
	s_delay_alu instid0(VALU_DEP_3)
	v_add_f64 v[74:75], v[172:173], v[74:75]
	v_fma_f64 v[172:173], v[4:5], s[40:41], v[10:11]
	v_fma_f64 v[4:5], v[4:5], s[40:41], -v[10:11]
	v_add_f64 v[10:11], v[23:24], -v[27:28]
	v_add_f64 v[76:77], v[208:209], v[76:77]
	v_add_f64 v[80:81], v[174:175], v[80:81]
	v_add_f64 v[174:175], v[220:221], -v[224:225]
	v_add_f64 v[172:173], v[172:173], v[244:245]
	v_add_f64 v[0:1], v[4:5], v[0:1]
	v_fma_f64 v[4:5], v[8:9], s[38:39], v[6:7]
	v_add_f64 v[8:9], v[21:22], -v[25:26]
	v_add_f64 v[6:7], v[23:24], v[27:28]
	s_delay_alu instid0(VALU_DEP_3) | instskip(SKIP_2) | instid1(VALU_DEP_4)
	v_add_f64 v[2:3], v[4:5], v[2:3]
	v_add_f64 v[4:5], v[21:22], v[25:26]
	v_mul_f64 v[21:22], v[10:11], s[10:11]
	v_mul_f64 v[27:28], v[6:7], s[52:53]
	s_delay_alu instid0(VALU_DEP_2) | instskip(SKIP_1) | instid1(VALU_DEP_2)
	v_fma_f64 v[23:24], v[4:5], s[8:9], v[21:22]
	v_fma_f64 v[21:22], v[4:5], s[8:9], -v[21:22]
	v_add_f64 v[14:15], v[23:24], v[14:15]
	v_mul_f64 v[23:24], v[6:7], s[8:9]
	s_delay_alu instid0(VALU_DEP_3) | instskip(NEXT) | instid1(VALU_DEP_2)
	v_add_f64 v[12:13], v[21:22], v[12:13]
	v_fma_f64 v[21:22], v[8:9], s[10:11], v[23:24]
	v_fma_f64 v[25:26], v[8:9], s[0:1], v[23:24]
	s_delay_alu instid0(VALU_DEP_2) | instskip(SKIP_1) | instid1(VALU_DEP_3)
	v_add_f64 v[16:17], v[21:22], v[16:17]
	v_mul_f64 v[21:22], v[10:11], s[50:51]
	v_add_f64 v[25:26], v[25:26], v[31:32]
	v_fma_f64 v[31:32], v[8:9], s[54:55], v[27:28]
	v_fma_f64 v[27:28], v[8:9], s[50:51], v[27:28]
	s_delay_alu instid0(VALU_DEP_4) | instskip(SKIP_1) | instid1(VALU_DEP_4)
	v_fma_f64 v[23:24], v[4:5], s[52:53], v[21:22]
	v_fma_f64 v[21:22], v[4:5], s[52:53], -v[21:22]
	v_add_f64 v[31:32], v[31:32], v[39:40]
	s_delay_alu instid0(VALU_DEP_4) | instskip(SKIP_4) | instid1(VALU_DEP_4)
	v_add_f64 v[27:28], v[27:28], v[35:36]
	v_mul_f64 v[35:36], v[6:7], s[14:15]
	v_add_f64 v[23:24], v[23:24], v[33:34]
	v_add_f64 v[21:22], v[21:22], v[29:30]
	v_mul_f64 v[29:30], v[10:11], s[16:17]
	v_fma_f64 v[39:40], v[8:9], s[12:13], v[35:36]
	v_fma_f64 v[35:36], v[8:9], s[16:17], v[35:36]
	s_delay_alu instid0(VALU_DEP_3) | instskip(SKIP_1) | instid1(VALU_DEP_4)
	v_fma_f64 v[33:34], v[4:5], s[14:15], v[29:30]
	v_fma_f64 v[29:30], v[4:5], s[14:15], -v[29:30]
	v_add_f64 v[39:40], v[39:40], v[45:46]
	s_delay_alu instid0(VALU_DEP_4) | instskip(SKIP_4) | instid1(VALU_DEP_4)
	v_add_f64 v[35:36], v[35:36], v[43:44]
	v_mul_f64 v[43:44], v[6:7], s[42:43]
	v_add_f64 v[33:34], v[33:34], v[41:42]
	v_add_f64 v[29:30], v[29:30], v[37:38]
	v_mul_f64 v[37:38], v[10:11], s[44:45]
	v_fma_f64 v[45:46], v[8:9], s[46:47], v[43:44]
	v_fma_f64 v[43:44], v[8:9], s[44:45], v[43:44]
	s_delay_alu instid0(VALU_DEP_3) | instskip(SKIP_1) | instid1(VALU_DEP_4)
	;; [unrolled: 12-line block ×4, first 2 shown]
	v_fma_f64 v[57:58], v[4:5], s[40:41], v[55:56]
	v_fma_f64 v[55:56], v[4:5], s[40:41], -v[55:56]
	v_add_f64 v[61:62], v[61:62], v[68:69]
	s_delay_alu instid0(VALU_DEP_4)
	v_add_f64 v[59:60], v[59:60], v[70:71]
	v_mul_f64 v[70:71], v[6:7], s[26:27]
	v_mul_f64 v[6:7], v[6:7], s[30:31]
	v_add_f64 v[57:58], v[57:58], v[82:83]
	v_add_f64 v[55:56], v[55:56], v[63:64]
	v_mul_f64 v[63:64], v[10:11], s[28:29]
	v_mul_f64 v[10:11], v[10:11], s[34:35]
	s_delay_alu instid0(VALU_DEP_2) | instskip(SKIP_1) | instid1(VALU_DEP_2)
	v_fma_f64 v[68:69], v[4:5], s[26:27], v[63:64]
	v_fma_f64 v[63:64], v[4:5], s[26:27], -v[63:64]
	v_add_f64 v[68:69], v[68:69], v[72:73]
	v_fma_f64 v[72:73], v[8:9], s[24:25], v[70:71]
	v_fma_f64 v[70:71], v[8:9], s[28:29], v[70:71]
	s_delay_alu instid0(VALU_DEP_4) | instskip(NEXT) | instid1(VALU_DEP_3)
	v_add_f64 v[63:64], v[63:64], v[78:79]
	v_add_f64 v[72:73], v[72:73], v[76:77]
	s_delay_alu instid0(VALU_DEP_3) | instskip(SKIP_4) | instid1(VALU_DEP_4)
	v_add_f64 v[70:71], v[70:71], v[74:75]
	v_fma_f64 v[74:75], v[4:5], s[30:31], v[10:11]
	v_fma_f64 v[4:5], v[4:5], s[30:31], -v[10:11]
	v_add_f64 v[10:11], v[238:239], -v[242:243]
	v_fma_f64 v[76:77], v[8:9], s[36:37], v[6:7]
	v_add_f64 v[74:75], v[74:75], v[172:173]
	s_delay_alu instid0(VALU_DEP_4)
	v_add_f64 v[0:1], v[4:5], v[0:1]
	v_fma_f64 v[4:5], v[8:9], s[34:35], v[6:7]
	v_mul_f64 v[78:79], v[10:11], s[12:13]
	v_add_f64 v[76:77], v[76:77], v[80:81]
	v_add_f64 v[6:7], v[238:239], v[242:243]
	v_add_f64 v[8:9], v[236:237], -v[240:241]
	v_add_f64 v[172:173], v[222:223], v[226:227]
	v_add_f64 v[2:3], v[4:5], v[2:3]
	;; [unrolled: 1-line block ×3, first 2 shown]
	s_delay_alu instid0(VALU_DEP_1) | instskip(SKIP_1) | instid1(VALU_DEP_2)
	v_fma_f64 v[80:81], v[4:5], s[14:15], v[78:79]
	v_fma_f64 v[78:79], v[4:5], s[14:15], -v[78:79]
	v_add_f64 v[14:15], v[80:81], v[14:15]
	v_mul_f64 v[80:81], v[6:7], s[14:15]
	s_delay_alu instid0(VALU_DEP_3) | instskip(NEXT) | instid1(VALU_DEP_2)
	v_add_f64 v[12:13], v[78:79], v[12:13]
	v_fma_f64 v[78:79], v[8:9], s[12:13], v[80:81]
	v_fma_f64 v[82:83], v[8:9], s[16:17], v[80:81]
	s_delay_alu instid0(VALU_DEP_2) | instskip(SKIP_1) | instid1(VALU_DEP_3)
	v_add_f64 v[16:17], v[78:79], v[16:17]
	v_mul_f64 v[78:79], v[10:11], s[48:49]
	v_add_f64 v[25:26], v[82:83], v[25:26]
	s_delay_alu instid0(VALU_DEP_2) | instskip(SKIP_1) | instid1(VALU_DEP_2)
	v_fma_f64 v[80:81], v[4:5], s[40:41], v[78:79]
	v_fma_f64 v[78:79], v[4:5], s[40:41], -v[78:79]
	v_add_f64 v[23:24], v[80:81], v[23:24]
	v_mul_f64 v[80:81], v[6:7], s[40:41]
	s_delay_alu instid0(VALU_DEP_3) | instskip(NEXT) | instid1(VALU_DEP_2)
	v_add_f64 v[21:22], v[78:79], v[21:22]
	v_fma_f64 v[78:79], v[8:9], s[48:49], v[80:81]
	v_fma_f64 v[82:83], v[8:9], s[38:39], v[80:81]
	s_delay_alu instid0(VALU_DEP_2) | instskip(SKIP_1) | instid1(VALU_DEP_3)
	v_add_f64 v[27:28], v[78:79], v[27:28]
	v_mul_f64 v[78:79], v[10:11], s[34:35]
	v_add_f64 v[31:32], v[82:83], v[31:32]
	s_delay_alu instid0(VALU_DEP_2) | instskip(SKIP_1) | instid1(VALU_DEP_2)
	;; [unrolled: 13-line block ×5, first 2 shown]
	v_fma_f64 v[80:81], v[4:5], s[8:9], v[78:79]
	v_fma_f64 v[78:79], v[4:5], s[8:9], -v[78:79]
	v_add_f64 v[57:58], v[80:81], v[57:58]
	v_mul_f64 v[80:81], v[6:7], s[8:9]
	s_delay_alu instid0(VALU_DEP_3) | instskip(NEXT) | instid1(VALU_DEP_2)
	v_add_f64 v[55:56], v[78:79], v[55:56]
	v_fma_f64 v[78:79], v[8:9], s[0:1], v[80:81]
	v_fma_f64 v[82:83], v[8:9], s[10:11], v[80:81]
	s_delay_alu instid0(VALU_DEP_2) | instskip(SKIP_2) | instid1(VALU_DEP_4)
	v_add_f64 v[59:60], v[78:79], v[59:60]
	v_mul_f64 v[78:79], v[10:11], s[46:47]
	v_mul_f64 v[10:11], v[10:11], s[24:25]
	v_add_f64 v[61:62], v[82:83], v[61:62]
	s_delay_alu instid0(VALU_DEP_3) | instskip(SKIP_1) | instid1(VALU_DEP_2)
	v_fma_f64 v[80:81], v[4:5], s[42:43], v[78:79]
	v_fma_f64 v[78:79], v[4:5], s[42:43], -v[78:79]
	v_add_f64 v[68:69], v[80:81], v[68:69]
	v_mul_f64 v[80:81], v[6:7], s[42:43]
	s_delay_alu instid0(VALU_DEP_3) | instskip(SKIP_1) | instid1(VALU_DEP_3)
	v_add_f64 v[63:64], v[78:79], v[63:64]
	v_mul_f64 v[6:7], v[6:7], s[26:27]
	v_fma_f64 v[78:79], v[8:9], s[46:47], v[80:81]
	v_fma_f64 v[82:83], v[8:9], s[44:45], v[80:81]
	s_delay_alu instid0(VALU_DEP_2) | instskip(SKIP_4) | instid1(VALU_DEP_4)
	v_add_f64 v[70:71], v[78:79], v[70:71]
	v_fma_f64 v[78:79], v[4:5], s[26:27], v[10:11]
	v_fma_f64 v[4:5], v[4:5], s[26:27], -v[10:11]
	v_add_f64 v[10:11], v[230:231], -v[234:235]
	v_add_f64 v[72:73], v[82:83], v[72:73]
	v_add_f64 v[74:75], v[78:79], v[74:75]
	v_fma_f64 v[78:79], v[8:9], s[28:29], v[6:7]
	v_add_f64 v[0:1], v[4:5], v[0:1]
	v_fma_f64 v[4:5], v[8:9], s[24:25], v[6:7]
	v_add_f64 v[6:7], v[230:231], v[234:235]
	v_add_f64 v[8:9], v[228:229], -v[232:233]
	v_add_f64 v[76:77], v[78:79], v[76:77]
	v_mul_f64 v[78:79], v[10:11], s[24:25]
	v_add_f64 v[2:3], v[4:5], v[2:3]
	v_add_f64 v[4:5], v[228:229], v[232:233]
	s_delay_alu instid0(VALU_DEP_1) | instskip(SKIP_1) | instid1(VALU_DEP_2)
	v_fma_f64 v[80:81], v[4:5], s[26:27], v[78:79]
	v_fma_f64 v[78:79], v[4:5], s[26:27], -v[78:79]
	v_add_f64 v[14:15], v[80:81], v[14:15]
	v_mul_f64 v[80:81], v[6:7], s[26:27]
	s_delay_alu instid0(VALU_DEP_3) | instskip(NEXT) | instid1(VALU_DEP_2)
	v_add_f64 v[12:13], v[78:79], v[12:13]
	v_fma_f64 v[78:79], v[8:9], s[24:25], v[80:81]
	v_fma_f64 v[82:83], v[8:9], s[28:29], v[80:81]
	s_delay_alu instid0(VALU_DEP_2) | instskip(SKIP_1) | instid1(VALU_DEP_3)
	v_add_f64 v[16:17], v[78:79], v[16:17]
	v_mul_f64 v[78:79], v[10:11], s[16:17]
	v_add_f64 v[25:26], v[82:83], v[25:26]
	s_delay_alu instid0(VALU_DEP_2) | instskip(SKIP_1) | instid1(VALU_DEP_2)
	v_fma_f64 v[80:81], v[4:5], s[14:15], v[78:79]
	v_fma_f64 v[78:79], v[4:5], s[14:15], -v[78:79]
	v_add_f64 v[23:24], v[80:81], v[23:24]
	v_mul_f64 v[80:81], v[6:7], s[14:15]
	s_delay_alu instid0(VALU_DEP_3) | instskip(NEXT) | instid1(VALU_DEP_2)
	v_add_f64 v[21:22], v[78:79], v[21:22]
	v_fma_f64 v[78:79], v[8:9], s[16:17], v[80:81]
	v_fma_f64 v[82:83], v[8:9], s[12:13], v[80:81]
	s_delay_alu instid0(VALU_DEP_2) | instskip(SKIP_1) | instid1(VALU_DEP_3)
	v_add_f64 v[27:28], v[78:79], v[27:28]
	v_mul_f64 v[78:79], v[10:11], s[46:47]
	v_add_f64 v[31:32], v[82:83], v[31:32]
	s_delay_alu instid0(VALU_DEP_2) | instskip(SKIP_1) | instid1(VALU_DEP_2)
	;; [unrolled: 13-line block ×5, first 2 shown]
	v_fma_f64 v[80:81], v[4:5], s[30:31], v[78:79]
	v_fma_f64 v[78:79], v[4:5], s[30:31], -v[78:79]
	v_add_f64 v[57:58], v[80:81], v[57:58]
	v_mul_f64 v[80:81], v[6:7], s[30:31]
	s_delay_alu instid0(VALU_DEP_3) | instskip(NEXT) | instid1(VALU_DEP_2)
	v_add_f64 v[55:56], v[78:79], v[55:56]
	v_fma_f64 v[78:79], v[8:9], s[36:37], v[80:81]
	v_fma_f64 v[82:83], v[8:9], s[34:35], v[80:81]
	s_delay_alu instid0(VALU_DEP_2) | instskip(SKIP_2) | instid1(VALU_DEP_4)
	v_add_f64 v[59:60], v[78:79], v[59:60]
	v_mul_f64 v[78:79], v[10:11], s[50:51]
	v_mul_f64 v[10:11], v[10:11], s[20:21]
	v_add_f64 v[61:62], v[82:83], v[61:62]
	s_delay_alu instid0(VALU_DEP_3) | instskip(SKIP_1) | instid1(VALU_DEP_2)
	v_fma_f64 v[80:81], v[4:5], s[52:53], v[78:79]
	v_fma_f64 v[78:79], v[4:5], s[52:53], -v[78:79]
	v_add_f64 v[68:69], v[80:81], v[68:69]
	v_mul_f64 v[80:81], v[6:7], s[52:53]
	s_delay_alu instid0(VALU_DEP_3) | instskip(SKIP_1) | instid1(VALU_DEP_3)
	v_add_f64 v[63:64], v[78:79], v[63:64]
	v_mul_f64 v[6:7], v[6:7], s[18:19]
	v_fma_f64 v[78:79], v[8:9], s[50:51], v[80:81]
	v_fma_f64 v[82:83], v[8:9], s[54:55], v[80:81]
	s_delay_alu instid0(VALU_DEP_2) | instskip(SKIP_2) | instid1(VALU_DEP_4)
	v_add_f64 v[70:71], v[78:79], v[70:71]
	v_fma_f64 v[78:79], v[4:5], s[18:19], v[10:11]
	v_fma_f64 v[4:5], v[4:5], s[18:19], -v[10:11]
	v_add_f64 v[72:73], v[82:83], v[72:73]
	v_add_f64 v[82:83], v[220:221], v[224:225]
	s_delay_alu instid0(VALU_DEP_4) | instskip(SKIP_1) | instid1(VALU_DEP_1)
	v_add_f64 v[74:75], v[78:79], v[74:75]
	v_fma_f64 v[78:79], v[8:9], s[22:23], v[6:7]
	v_add_f64 v[76:77], v[78:79], v[76:77]
	v_add_f64 v[78:79], v[4:5], v[0:1]
	v_fma_f64 v[0:1], v[8:9], s[20:21], v[6:7]
	v_add_f64 v[6:7], v[222:223], -v[226:227]
	v_mul_f64 v[8:9], v[172:173], s[40:41]
	s_delay_alu instid0(VALU_DEP_3) | instskip(NEXT) | instid1(VALU_DEP_3)
	v_add_f64 v[80:81], v[0:1], v[2:3]
	v_mul_f64 v[2:3], v[6:7], s[38:39]
	s_delay_alu instid0(VALU_DEP_3) | instskip(NEXT) | instid1(VALU_DEP_2)
	v_fma_f64 v[4:5], v[174:175], s[48:49], v[8:9]
	v_fma_f64 v[0:1], v[82:83], s[40:41], v[2:3]
	v_fma_f64 v[2:3], v[82:83], s[40:41], -v[2:3]
	s_delay_alu instid0(VALU_DEP_3) | instskip(SKIP_1) | instid1(VALU_DEP_4)
	v_add_f64 v[254:255], v[4:5], v[25:26]
	v_mul_f64 v[25:26], v[172:173], s[14:15]
	v_add_f64 v[0:1], v[0:1], v[14:15]
	s_delay_alu instid0(VALU_DEP_4) | instskip(SKIP_2) | instid1(VALU_DEP_2)
	v_add_f64 v[4:5], v[2:3], v[12:13]
	v_fma_f64 v[2:3], v[174:175], s[38:39], v[8:9]
	v_mul_f64 v[8:9], v[6:7], s[20:21]
	v_add_f64 v[2:3], v[2:3], v[16:17]
	s_delay_alu instid0(VALU_DEP_2) | instskip(SKIP_1) | instid1(VALU_DEP_2)
	v_fma_f64 v[10:11], v[82:83], s[18:19], v[8:9]
	v_fma_f64 v[8:9], v[82:83], s[18:19], -v[8:9]
	v_add_f64 v[224:225], v[10:11], v[23:24]
	v_mul_f64 v[10:11], v[172:173], s[18:19]
	s_delay_alu instid0(VALU_DEP_3) | instskip(SKIP_1) | instid1(VALU_DEP_3)
	v_add_f64 v[220:221], v[8:9], v[21:22]
	v_mul_f64 v[23:24], v[172:173], s[30:31]
	v_fma_f64 v[8:9], v[174:175], s[20:21], v[10:11]
	v_fma_f64 v[12:13], v[174:175], s[22:23], v[10:11]
	s_delay_alu instid0(VALU_DEP_2) | instskip(SKIP_1) | instid1(VALU_DEP_3)
	v_add_f64 v[222:223], v[8:9], v[27:28]
	v_mul_f64 v[8:9], v[6:7], s[10:11]
	v_add_f64 v[226:227], v[12:13], v[31:32]
	v_fma_f64 v[27:28], v[174:175], s[16:17], v[25:26]
	s_delay_alu instid0(VALU_DEP_3) | instskip(SKIP_1) | instid1(VALU_DEP_2)
	v_fma_f64 v[10:11], v[82:83], s[8:9], v[8:9]
	v_fma_f64 v[8:9], v[82:83], s[8:9], -v[8:9]
	v_add_f64 v[232:233], v[10:11], v[33:34]
	v_mul_f64 v[10:11], v[172:173], s[8:9]
	s_delay_alu instid0(VALU_DEP_3) | instskip(SKIP_1) | instid1(VALU_DEP_3)
	v_add_f64 v[228:229], v[8:9], v[29:30]
	v_add_f64 v[29:30], v[214:215], -v[218:219]
	v_fma_f64 v[8:9], v[174:175], s[10:11], v[10:11]
	v_fma_f64 v[12:13], v[174:175], s[0:1], v[10:11]
	s_delay_alu instid0(VALU_DEP_3) | instskip(NEXT) | instid1(VALU_DEP_3)
	v_mul_f64 v[33:34], v[29:30], s[50:51]
	v_add_f64 v[230:231], v[8:9], v[35:36]
	v_mul_f64 v[8:9], v[6:7], s[28:29]
	s_delay_alu instid0(VALU_DEP_4) | instskip(NEXT) | instid1(VALU_DEP_2)
	v_add_f64 v[234:235], v[12:13], v[39:40]
	v_fma_f64 v[10:11], v[82:83], s[26:27], v[8:9]
	v_fma_f64 v[8:9], v[82:83], s[26:27], -v[8:9]
	s_delay_alu instid0(VALU_DEP_2) | instskip(SKIP_1) | instid1(VALU_DEP_3)
	v_add_f64 v[240:241], v[10:11], v[41:42]
	v_mul_f64 v[10:11], v[172:173], s[26:27]
	v_add_f64 v[236:237], v[8:9], v[37:38]
	v_add_f64 v[41:42], v[27:28], v[76:77]
	;; [unrolled: 1-line block ×3, first 2 shown]
	s_delay_alu instid0(VALU_DEP_4) | instskip(SKIP_1) | instid1(VALU_DEP_2)
	v_fma_f64 v[8:9], v[174:175], s[28:29], v[10:11]
	v_fma_f64 v[12:13], v[174:175], s[24:25], v[10:11]
	v_add_f64 v[238:239], v[8:9], v[43:44]
	v_mul_f64 v[8:9], v[6:7], s[46:47]
	s_delay_alu instid0(VALU_DEP_3) | instskip(NEXT) | instid1(VALU_DEP_2)
	v_add_f64 v[242:243], v[12:13], v[45:46]
	v_fma_f64 v[10:11], v[82:83], s[42:43], v[8:9]
	v_fma_f64 v[8:9], v[82:83], s[42:43], -v[8:9]
	s_delay_alu instid0(VALU_DEP_2) | instskip(SKIP_1) | instid1(VALU_DEP_3)
	v_add_f64 v[248:249], v[10:11], v[49:50]
	v_mul_f64 v[10:11], v[172:173], s[42:43]
	v_add_f64 v[244:245], v[8:9], v[47:48]
	s_delay_alu instid0(VALU_DEP_2) | instskip(SKIP_1) | instid1(VALU_DEP_2)
	v_fma_f64 v[8:9], v[174:175], s[46:47], v[10:11]
	v_fma_f64 v[12:13], v[174:175], s[44:45], v[10:11]
	v_add_f64 v[246:247], v[8:9], v[51:52]
	v_mul_f64 v[8:9], v[6:7], s[50:51]
	s_delay_alu instid0(VALU_DEP_3) | instskip(NEXT) | instid1(VALU_DEP_2)
	v_add_f64 v[250:251], v[12:13], v[53:54]
	v_fma_f64 v[10:11], v[82:83], s[52:53], v[8:9]
	v_fma_f64 v[8:9], v[82:83], s[52:53], -v[8:9]
	s_delay_alu instid0(VALU_DEP_2) | instskip(SKIP_1) | instid1(VALU_DEP_3)
	v_add_f64 v[252:253], v[10:11], v[57:58]
	v_mul_f64 v[10:11], v[172:173], s[52:53]
	v_add_f64 v[31:32], v[8:9], v[55:56]
	s_delay_alu instid0(VALU_DEP_2) | instskip(SKIP_1) | instid1(VALU_DEP_2)
	v_fma_f64 v[8:9], v[174:175], s[50:51], v[10:11]
	v_fma_f64 v[12:13], v[174:175], s[54:55], v[10:11]
	v_add_f64 v[16:17], v[8:9], v[59:60]
	v_mul_f64 v[8:9], v[6:7], s[34:35]
	s_delay_alu instid0(VALU_DEP_3) | instskip(NEXT) | instid1(VALU_DEP_2)
	v_add_f64 v[21:22], v[12:13], v[61:62]
	v_fma_f64 v[10:11], v[82:83], s[30:31], v[8:9]
	v_fma_f64 v[8:9], v[82:83], s[30:31], -v[8:9]
	s_delay_alu instid0(VALU_DEP_2) | instskip(SKIP_1) | instid1(VALU_DEP_1)
	v_add_f64 v[14:15], v[10:11], v[68:69]
	v_fma_f64 v[10:11], v[174:175], s[36:37], v[23:24]
	v_add_f64 v[12:13], v[10:11], v[72:73]
	s_delay_alu instid0(VALU_DEP_4) | instskip(SKIP_2) | instid1(VALU_DEP_2)
	v_add_f64 v[10:11], v[8:9], v[63:64]
	v_fma_f64 v[8:9], v[174:175], s[34:35], v[23:24]
	v_mul_f64 v[23:24], v[6:7], s[12:13]
	v_add_f64 v[8:9], v[8:9], v[70:71]
	s_delay_alu instid0(VALU_DEP_2) | instskip(SKIP_1) | instid1(VALU_DEP_2)
	v_fma_f64 v[6:7], v[82:83], s[14:15], v[23:24]
	v_fma_f64 v[23:24], v[82:83], s[14:15], -v[23:24]
	v_add_f64 v[6:7], v[6:7], v[74:75]
	s_delay_alu instid0(VALU_DEP_2) | instskip(SKIP_2) | instid1(VALU_DEP_2)
	v_add_f64 v[39:40], v[23:24], v[78:79]
	v_fma_f64 v[23:24], v[174:175], s[12:13], v[25:26]
	v_add_f64 v[25:26], v[212:213], v[216:217]
	v_add_f64 v[37:38], v[23:24], v[80:81]
	s_delay_alu instid0(VALU_DEP_2) | instskip(SKIP_2) | instid1(VALU_DEP_3)
	v_fma_f64 v[35:36], v[25:26], s[52:53], v[33:34]
	v_add_f64 v[23:24], v[212:213], -v[216:217]
	v_fma_f64 v[33:34], v[25:26], s[52:53], -v[33:34]
	v_add_f64 v[216:217], v[35:36], v[0:1]
	v_mul_f64 v[0:1], v[27:28], s[52:53]
	s_delay_alu instid0(VALU_DEP_3) | instskip(SKIP_1) | instid1(VALU_DEP_3)
	v_add_f64 v[212:213], v[33:34], v[4:5]
	v_mul_f64 v[33:34], v[27:28], s[18:19]
	v_fma_f64 v[35:36], v[23:24], s[54:55], v[0:1]
	v_fma_f64 v[0:1], v[23:24], s[50:51], v[0:1]
	s_delay_alu instid0(VALU_DEP_2) | instskip(NEXT) | instid1(VALU_DEP_2)
	v_add_f64 v[218:219], v[35:36], v[254:255]
	v_add_f64 v[214:215], v[0:1], v[2:3]
	v_mul_f64 v[0:1], v[29:30], s[44:45]
	s_delay_alu instid0(VALU_DEP_1) | instskip(SKIP_1) | instid1(VALU_DEP_2)
	v_fma_f64 v[2:3], v[25:26], s[42:43], v[0:1]
	v_fma_f64 v[0:1], v[25:26], s[42:43], -v[0:1]
	v_add_f64 v[224:225], v[2:3], v[224:225]
	v_mul_f64 v[2:3], v[27:28], s[42:43]
	s_delay_alu instid0(VALU_DEP_3) | instskip(NEXT) | instid1(VALU_DEP_2)
	v_add_f64 v[220:221], v[0:1], v[220:221]
	v_fma_f64 v[0:1], v[23:24], s[44:45], v[2:3]
	v_fma_f64 v[4:5], v[23:24], s[46:47], v[2:3]
	s_delay_alu instid0(VALU_DEP_2) | instskip(SKIP_1) | instid1(VALU_DEP_3)
	v_add_f64 v[222:223], v[0:1], v[222:223]
	v_mul_f64 v[0:1], v[29:30], s[38:39]
	v_add_f64 v[226:227], v[4:5], v[226:227]
	s_delay_alu instid0(VALU_DEP_2) | instskip(SKIP_1) | instid1(VALU_DEP_2)
	v_fma_f64 v[2:3], v[25:26], s[40:41], v[0:1]
	v_fma_f64 v[0:1], v[25:26], s[40:41], -v[0:1]
	v_add_f64 v[232:233], v[2:3], v[232:233]
	v_mul_f64 v[2:3], v[27:28], s[40:41]
	s_delay_alu instid0(VALU_DEP_3) | instskip(NEXT) | instid1(VALU_DEP_2)
	v_add_f64 v[228:229], v[0:1], v[228:229]
	v_fma_f64 v[0:1], v[23:24], s[38:39], v[2:3]
	v_fma_f64 v[4:5], v[23:24], s[48:49], v[2:3]
	s_delay_alu instid0(VALU_DEP_2) | instskip(SKIP_1) | instid1(VALU_DEP_3)
	v_add_f64 v[230:231], v[0:1], v[230:231]
	v_mul_f64 v[0:1], v[29:30], s[34:35]
	v_add_f64 v[234:235], v[4:5], v[234:235]
	s_delay_alu instid0(VALU_DEP_2) | instskip(SKIP_1) | instid1(VALU_DEP_2)
	;; [unrolled: 13-line block ×3, first 2 shown]
	v_fma_f64 v[2:3], v[25:26], s[26:27], v[0:1]
	v_fma_f64 v[0:1], v[25:26], s[26:27], -v[0:1]
	v_add_f64 v[248:249], v[2:3], v[248:249]
	v_mul_f64 v[2:3], v[27:28], s[26:27]
	s_delay_alu instid0(VALU_DEP_3) | instskip(NEXT) | instid1(VALU_DEP_2)
	v_add_f64 v[244:245], v[0:1], v[244:245]
	v_fma_f64 v[4:5], v[23:24], s[28:29], v[2:3]
	v_fma_f64 v[0:1], v[23:24], s[24:25], v[2:3]
	;; [unrolled: 1-line block ×3, first 2 shown]
	s_delay_alu instid0(VALU_DEP_3) | instskip(SKIP_1) | instid1(VALU_DEP_4)
	v_add_f64 v[250:251], v[4:5], v[250:251]
	v_mul_f64 v[4:5], v[29:30], s[20:21]
	v_add_f64 v[246:247], v[0:1], v[246:247]
	s_delay_alu instid0(VALU_DEP_4) | instskip(SKIP_4) | instid1(VALU_DEP_2)
	v_add_f64 v[2:3], v[2:3], v[21:22]
	v_mul_f64 v[21:22], v[27:28], s[14:15]
	v_mul_f64 v[27:28], v[27:28], s[8:9]
	v_fma_f64 v[0:1], v[25:26], s[18:19], v[4:5]
	v_fma_f64 v[4:5], v[25:26], s[18:19], -v[4:5]
	v_add_f64 v[0:1], v[0:1], v[252:253]
	s_delay_alu instid0(VALU_DEP_2) | instskip(SKIP_1) | instid1(VALU_DEP_1)
	v_add_f64 v[31:32], v[4:5], v[31:32]
	v_fma_f64 v[4:5], v[23:24], s[20:21], v[33:34]
	v_add_f64 v[33:34], v[4:5], v[16:17]
	v_mul_f64 v[4:5], v[29:30], s[12:13]
	s_delay_alu instid0(VALU_DEP_1) | instskip(SKIP_1) | instid1(VALU_DEP_2)
	v_fma_f64 v[16:17], v[25:26], s[14:15], v[4:5]
	v_fma_f64 v[4:5], v[25:26], s[14:15], -v[4:5]
	v_add_f64 v[14:15], v[16:17], v[14:15]
	v_fma_f64 v[16:17], v[23:24], s[16:17], v[21:22]
	s_delay_alu instid0(VALU_DEP_3) | instskip(SKIP_1) | instid1(VALU_DEP_3)
	v_add_f64 v[10:11], v[4:5], v[10:11]
	v_fma_f64 v[4:5], v[23:24], s[12:13], v[21:22]
	v_add_f64 v[16:17], v[16:17], v[12:13]
	s_delay_alu instid0(VALU_DEP_2) | instskip(SKIP_1) | instid1(VALU_DEP_1)
	v_add_f64 v[12:13], v[4:5], v[8:9]
	v_mul_f64 v[8:9], v[29:30], s[0:1]
	v_fma_f64 v[4:5], v[25:26], s[8:9], v[8:9]
	v_fma_f64 v[8:9], v[25:26], s[8:9], -v[8:9]
	s_delay_alu instid0(VALU_DEP_2) | instskip(SKIP_1) | instid1(VALU_DEP_3)
	v_add_f64 v[4:5], v[4:5], v[6:7]
	v_fma_f64 v[6:7], v[23:24], s[10:11], v[27:28]
	v_add_f64 v[21:22], v[8:9], v[39:40]
	v_fma_f64 v[8:9], v[23:24], s[0:1], v[27:28]
	s_delay_alu instid0(VALU_DEP_3) | instskip(NEXT) | instid1(VALU_DEP_2)
	v_add_f64 v[6:7], v[6:7], v[41:42]
	v_add_f64 v[23:24], v[8:9], v[37:38]
	ds_store_b128 v19, v[168:171]
	ds_store_b128 v19, v[216:219] offset:16
	ds_store_b128 v19, v[224:227] offset:32
	;; [unrolled: 1-line block ×16, first 2 shown]
	s_waitcnt lgkmcnt(0)
	s_barrier
	buffer_gl0_inv
	ds_load_b128 v[240:243], v67
	ds_load_b128 v[12:15], v67 offset:9248
	ds_load_b128 v[236:239], v67 offset:1088
	;; [unrolled: 1-line block ×15, first 2 shown]
	s_and_saveexec_b32 s0, vcc_lo
	s_cbranch_execz .LBB0_11
; %bb.10:
	ds_load_b128 v[212:215], v67 offset:8704
	ds_load_b128 v[204:207], v67 offset:17952
.LBB0_11:
	s_or_b32 exec_lo, exec_lo, s0
	s_clause 0x1
	scratch_load_b128 v[23:26], off, off offset:324
	scratch_load_b128 v[31:34], off, off offset:372
	s_waitcnt vmcnt(1) lgkmcnt(14)
	v_mul_f64 v[21:22], v[25:26], v[14:15]
	s_delay_alu instid0(VALU_DEP_1) | instskip(SKIP_1) | instid1(VALU_DEP_1)
	v_fma_f64 v[21:22], v[23:24], v[12:13], v[21:22]
	v_mul_f64 v[12:13], v[25:26], v[12:13]
	v_fma_f64 v[12:13], v[23:24], v[14:15], -v[12:13]
	scratch_load_b128 v[23:26], off, off offset:308 ; 16-byte Folded Reload
	s_waitcnt vmcnt(0) lgkmcnt(12)
	v_mul_f64 v[14:15], v[25:26], v[18:19]
	s_delay_alu instid0(VALU_DEP_1) | instskip(SKIP_1) | instid1(VALU_DEP_1)
	v_fma_f64 v[14:15], v[23:24], v[16:17], v[14:15]
	v_mul_f64 v[16:17], v[25:26], v[16:17]
	v_fma_f64 v[16:17], v[23:24], v[18:19], -v[16:17]
	s_waitcnt lgkmcnt(10)
	v_mul_f64 v[18:19], v[102:103], v[6:7]
	s_delay_alu instid0(VALU_DEP_1) | instskip(SKIP_1) | instid1(VALU_DEP_1)
	v_fma_f64 v[18:19], v[100:101], v[4:5], v[18:19]
	v_mul_f64 v[4:5], v[102:103], v[4:5]
	v_fma_f64 v[23:24], v[100:101], v[6:7], -v[4:5]
	s_waitcnt lgkmcnt(8)
	v_mul_f64 v[4:5], v[94:95], v[10:11]
	s_delay_alu instid0(VALU_DEP_1) | instskip(SKIP_1) | instid1(VALU_DEP_1)
	v_fma_f64 v[25:26], v[92:93], v[8:9], v[4:5]
	v_mul_f64 v[4:5], v[94:95], v[8:9]
	v_fma_f64 v[8:9], v[92:93], v[10:11], -v[4:5]
	s_waitcnt lgkmcnt(6)
	v_mul_f64 v[4:5], v[98:99], v[254:255]
	s_delay_alu instid0(VALU_DEP_1) | instskip(SKIP_1) | instid1(VALU_DEP_1)
	v_fma_f64 v[10:11], v[96:97], v[252:253], v[4:5]
	v_mul_f64 v[4:5], v[98:99], v[252:253]
	v_fma_f64 v[27:28], v[96:97], v[254:255], -v[4:5]
	s_waitcnt lgkmcnt(4)
	v_mul_f64 v[4:5], v[33:34], v[2:3]
	s_delay_alu instid0(VALU_DEP_1) | instskip(SKIP_1) | instid1(VALU_DEP_1)
	v_fma_f64 v[29:30], v[31:32], v[0:1], v[4:5]
	v_mul_f64 v[0:1], v[33:34], v[0:1]
	v_fma_f64 v[31:32], v[31:32], v[2:3], -v[0:1]
	scratch_load_b128 v[2:5], off, off offset:356 ; 16-byte Folded Reload
	s_waitcnt vmcnt(0) lgkmcnt(2)
	v_mul_f64 v[0:1], v[4:5], v[246:247]
	s_delay_alu instid0(VALU_DEP_1) | instskip(SKIP_1) | instid1(VALU_DEP_1)
	v_fma_f64 v[33:34], v[2:3], v[244:245], v[0:1]
	v_mul_f64 v[0:1], v[4:5], v[244:245]
	v_fma_f64 v[35:36], v[2:3], v[246:247], -v[0:1]
	scratch_load_b128 v[2:5], off, off offset:340 ; 16-byte Folded Reload
	s_waitcnt vmcnt(0) lgkmcnt(0)
	v_mul_f64 v[0:1], v[4:5], v[250:251]
	s_delay_alu instid0(VALU_DEP_1) | instskip(SKIP_1) | instid1(VALU_DEP_1)
	v_fma_f64 v[37:38], v[2:3], v[248:249], v[0:1]
	v_mul_f64 v[0:1], v[4:5], v[248:249]
	v_fma_f64 v[39:40], v[2:3], v[250:251], -v[0:1]
	scratch_load_b128 v[2:5], off, off offset:292 ; 16-byte Folded Reload
	s_waitcnt vmcnt(0)
	s_barrier
	buffer_gl0_inv
	v_mul_f64 v[0:1], v[4:5], v[206:207]
	s_delay_alu instid0(VALU_DEP_1) | instskip(SKIP_1) | instid1(VALU_DEP_2)
	v_fma_f64 v[41:42], v[2:3], v[204:205], v[0:1]
	v_mul_f64 v[0:1], v[4:5], v[204:205]
	v_add_f64 v[68:69], v[212:213], -v[41:42]
	s_delay_alu instid0(VALU_DEP_2)
	v_fma_f64 v[43:44], v[2:3], v[206:207], -v[0:1]
	v_add_f64 v[2:3], v[242:243], -v[12:13]
	scratch_load_b32 v12, off, off offset:420 ; 4-byte Folded Reload
	v_add_f64 v[0:1], v[240:241], -v[21:22]
	v_add_f64 v[70:71], v[214:215], -v[43:44]
	v_fma_f64 v[6:7], v[242:243], 2.0, -v[2:3]
	s_delay_alu instid0(VALU_DEP_3)
	v_fma_f64 v[4:5], v[240:241], 2.0, -v[0:1]
	s_waitcnt vmcnt(0)
	ds_store_b128 v12, v[0:3] offset:272
	ds_store_b128 v12, v[4:7]
	scratch_load_b32 v12, off, off offset:412 ; 4-byte Folded Reload
	v_add_f64 v[0:1], v[236:237], -v[14:15]
	v_add_f64 v[2:3], v[238:239], -v[16:17]
	;; [unrolled: 1-line block ×3, first 2 shown]
	s_delay_alu instid0(VALU_DEP_3) | instskip(NEXT) | instid1(VALU_DEP_3)
	v_fma_f64 v[4:5], v[236:237], 2.0, -v[0:1]
	v_fma_f64 v[6:7], v[238:239], 2.0, -v[2:3]
	s_delay_alu instid0(VALU_DEP_3)
	v_fma_f64 v[21:22], v[208:209], 2.0, -v[16:17]
	s_waitcnt vmcnt(0)
	ds_store_b128 v12, v[4:7]
	ds_store_b128 v12, v[0:3] offset:272
	scratch_load_b32 v12, off, off offset:404 ; 4-byte Folded Reload
	v_add_f64 v[0:1], v[232:233], -v[18:19]
	v_add_f64 v[2:3], v[234:235], -v[23:24]
	;; [unrolled: 1-line block ×3, first 2 shown]
	s_delay_alu instid0(VALU_DEP_3) | instskip(NEXT) | instid1(VALU_DEP_3)
	v_fma_f64 v[4:5], v[232:233], 2.0, -v[0:1]
	v_fma_f64 v[6:7], v[234:235], 2.0, -v[2:3]
	s_delay_alu instid0(VALU_DEP_3)
	v_fma_f64 v[23:24], v[210:211], 2.0, -v[18:19]
	s_waitcnt vmcnt(0)
	ds_store_b128 v12, v[4:7]
	ds_store_b128 v12, v[0:3] offset:272
	v_add_f64 v[2:3], v[230:231], -v[8:9]
	scratch_load_b32 v8, off, off offset:396 ; 4-byte Folded Reload
	v_add_f64 v[0:1], v[228:229], -v[25:26]
	v_fma_f64 v[6:7], v[230:231], 2.0, -v[2:3]
	s_delay_alu instid0(VALU_DEP_2)
	v_fma_f64 v[4:5], v[228:229], 2.0, -v[0:1]
	s_waitcnt vmcnt(0)
	ds_store_b128 v8, v[4:7]
	ds_store_b128 v8, v[0:3] offset:272
	scratch_load_b32 v8, off, off offset:388 ; 4-byte Folded Reload
	v_add_f64 v[0:1], v[224:225], -v[10:11]
	v_add_f64 v[2:3], v[226:227], -v[27:28]
	;; [unrolled: 1-line block ×3, first 2 shown]
	s_delay_alu instid0(VALU_DEP_3) | instskip(NEXT) | instid1(VALU_DEP_3)
	v_fma_f64 v[4:5], v[224:225], 2.0, -v[0:1]
	v_fma_f64 v[6:7], v[226:227], 2.0, -v[2:3]
	s_delay_alu instid0(VALU_DEP_3)
	v_fma_f64 v[14:15], v[218:219], 2.0, -v[10:11]
	s_waitcnt vmcnt(0)
	ds_store_b128 v8, v[4:7]
	ds_store_b128 v8, v[0:3] offset:272
	v_add_f64 v[0:1], v[220:221], -v[29:30]
	v_add_f64 v[2:3], v[222:223], -v[31:32]
	;; [unrolled: 1-line block ×3, first 2 shown]
	s_delay_alu instid0(VALU_DEP_3) | instskip(NEXT) | instid1(VALU_DEP_3)
	v_fma_f64 v[4:5], v[220:221], 2.0, -v[0:1]
	v_fma_f64 v[6:7], v[222:223], 2.0, -v[2:3]
	s_delay_alu instid0(VALU_DEP_3)
	v_fma_f64 v[12:13], v[216:217], 2.0, -v[8:9]
	ds_store_b128 v127, v[4:7]
	ds_store_b128 v127, v[0:3] offset:272
	ds_store_b128 v126, v[12:15]
	ds_store_b128 v126, v[8:11] offset:272
	;; [unrolled: 2-line block ×3, first 2 shown]
	s_and_saveexec_b32 s0, vcc_lo
	s_cbranch_execz .LBB0_13
; %bb.12:
	s_clause 0x1
	scratch_load_b32 v4, off, off offset:276
	scratch_load_b32 v5, off, off offset:284
	v_fma_f64 v[2:3], v[214:215], 2.0, -v[70:71]
	v_fma_f64 v[0:1], v[212:213], 2.0, -v[68:69]
	s_waitcnt vmcnt(0)
	v_mad_u16 v4, v4, 34, v5
	s_delay_alu instid0(VALU_DEP_1) | instskip(NEXT) | instid1(VALU_DEP_1)
	v_and_b32_e32 v4, 0xffff, v4
	v_lshl_add_u32 v4, v4, 4, v120
	ds_store_b128 v4, v[0:3]
	ds_store_b128 v4, v[68:71] offset:272
.LBB0_13:
	s_or_b32 exec_lo, exec_lo, s0
	s_waitcnt lgkmcnt(0)
	s_barrier
	buffer_gl0_inv
	ds_load_b128 v[0:3], v67 offset:1088
	ds_load_b128 v[6:9], v67 offset:3264
	;; [unrolled: 1-line block ×4, first 2 shown]
	s_mov_b32 s26, 0x5d8e7cdc
	s_mov_b32 s0, 0x2a9d6da3
	;; [unrolled: 1-line block ×16, first 2 shown]
	s_waitcnt lgkmcnt(3)
	v_mul_f64 v[4:5], v[90:91], v[2:3]
	s_mov_b32 s12, 0x2b2883cd
	s_mov_b32 s18, 0x3259b75e
	s_waitcnt lgkmcnt(0)
	v_mul_f64 v[18:19], v[138:139], v[27:28]
	s_mov_b32 s22, 0xc61f0d01
	s_mov_b32 s28, 0x6ed5f1bb
	;; [unrolled: 1-line block ×27, first 2 shown]
	ds_load_b128 v[10:13], v67 offset:4352
	v_fma_f64 v[23:24], v[88:89], v[0:1], v[4:5]
	v_mul_f64 v[0:1], v[90:91], v[0:1]
	v_fma_f64 v[18:19], v[136:137], v[29:30], -v[18:19]
	s_delay_alu instid0(VALU_DEP_2) | instskip(SKIP_3) | instid1(VALU_DEP_1)
	v_fma_f64 v[25:26], v[88:89], v[2:3], -v[0:1]
	ds_load_b128 v[2:5], v67 offset:2176
	s_waitcnt lgkmcnt(0)
	v_mul_f64 v[0:1], v[118:119], v[4:5]
	v_fma_f64 v[212:213], v[116:117], v[2:3], v[0:1]
	v_mul_f64 v[2:3], v[118:119], v[2:3]
	s_delay_alu instid0(VALU_DEP_1) | instskip(SKIP_1) | instid1(VALU_DEP_1)
	v_fma_f64 v[210:211], v[116:117], v[4:5], -v[2:3]
	v_mul_f64 v[4:5], v[114:115], v[8:9]
	v_fma_f64 v[208:209], v[112:113], v[6:7], v[4:5]
	v_mul_f64 v[6:7], v[114:115], v[6:7]
	s_delay_alu instid0(VALU_DEP_1) | instskip(SKIP_1) | instid1(VALU_DEP_1)
	v_fma_f64 v[6:7], v[112:113], v[8:9], -v[6:7]
	;; [unrolled: 5-line block ×4, first 2 shown]
	v_mul_f64 v[16:17], v[138:139], v[29:30]
	v_fma_f64 v[16:17], v[136:137], v[27:28], v[16:17]
	ds_load_b128 v[27:30], v67 offset:7616
	s_waitcnt lgkmcnt(0)
	v_mul_f64 v[21:22], v[130:131], v[29:30]
	s_delay_alu instid0(VALU_DEP_1) | instskip(SKIP_1) | instid1(VALU_DEP_1)
	v_fma_f64 v[21:22], v[128:129], v[27:28], v[21:22]
	v_mul_f64 v[27:28], v[130:131], v[27:28]
	v_fma_f64 v[100:101], v[128:129], v[29:30], -v[27:28]
	ds_load_b128 v[27:30], v67 offset:8704
	s_waitcnt lgkmcnt(0)
	v_mul_f64 v[31:32], v[86:87], v[29:30]
	s_delay_alu instid0(VALU_DEP_1) | instskip(SKIP_1) | instid1(VALU_DEP_1)
	v_fma_f64 v[102:103], v[84:85], v[27:28], v[31:32]
	v_mul_f64 v[27:28], v[86:87], v[27:28]
	v_fma_f64 v[104:105], v[84:85], v[29:30], -v[27:28]
	;; [unrolled: 7-line block ×5, first 2 shown]
	ds_load_b128 v[27:30], v67 offset:13056
	s_waitcnt lgkmcnt(0)
	v_mul_f64 v[31:32], v[134:135], v[29:30]
	s_delay_alu instid0(VALU_DEP_1) | instskip(SKIP_1) | instid1(VALU_DEP_2)
	v_fma_f64 v[4:5], v[132:133], v[27:28], v[31:32]
	v_mul_f64 v[27:28], v[134:135], v[27:28]
	v_add_f64 v[250:251], v[12:13], v[4:5]
	s_delay_alu instid0(VALU_DEP_2) | instskip(SKIP_4) | instid1(VALU_DEP_1)
	v_fma_f64 v[2:3], v[132:133], v[29:30], -v[27:28]
	ds_load_b128 v[27:30], v67 offset:14144
	v_add_f64 v[254:255], v[12:13], -v[4:5]
	s_waitcnt lgkmcnt(0)
	v_mul_f64 v[31:32], v[166:167], v[29:30]
	v_fma_f64 v[126:127], v[164:165], v[27:28], v[31:32]
	v_mul_f64 v[27:28], v[166:167], v[27:28]
	s_delay_alu instid0(VALU_DEP_2) | instskip(NEXT) | instid1(VALU_DEP_2)
	v_add_f64 v[238:239], v[8:9], v[126:127]
	v_fma_f64 v[128:129], v[164:165], v[29:30], -v[27:28]
	ds_load_b128 v[27:30], v67 offset:15232
	v_add_f64 v[242:243], v[8:9], -v[126:127]
	s_waitcnt lgkmcnt(0)
	v_mul_f64 v[31:32], v[162:163], v[29:30]
	v_add_f64 v[246:247], v[10:11], -v[128:129]
	v_add_f64 v[248:249], v[10:11], v[128:129]
	s_delay_alu instid0(VALU_DEP_3) | instskip(SKIP_1) | instid1(VALU_DEP_4)
	v_fma_f64 v[130:131], v[160:161], v[27:28], v[31:32]
	v_mul_f64 v[27:28], v[162:163], v[27:28]
	v_mul_f64 v[240:241], v[246:247], s[16:17]
	s_delay_alu instid0(VALU_DEP_4) | instskip(NEXT) | instid1(VALU_DEP_4)
	v_mul_f64 v[244:245], v[248:249], s[18:19]
	v_add_f64 v[214:215], v[208:209], v[130:131]
	s_delay_alu instid0(VALU_DEP_4)
	v_fma_f64 v[132:133], v[160:161], v[29:30], -v[27:28]
	ds_load_b128 v[27:30], v67 offset:16320
	v_add_f64 v[218:219], v[208:209], -v[130:131]
	s_waitcnt lgkmcnt(0)
	v_mul_f64 v[31:32], v[154:155], v[29:30]
	v_add_f64 v[234:235], v[6:7], -v[132:133]
	v_add_f64 v[236:237], v[6:7], v[132:133]
	s_delay_alu instid0(VALU_DEP_3) | instskip(SKIP_1) | instid1(VALU_DEP_4)
	v_fma_f64 v[134:135], v[152:153], v[27:28], v[31:32]
	v_mul_f64 v[27:28], v[154:155], v[27:28]
	v_mul_f64 v[216:217], v[234:235], s[10:11]
	s_delay_alu instid0(VALU_DEP_4) | instskip(NEXT) | instid1(VALU_DEP_3)
	v_mul_f64 v[220:221], v[236:237], s[12:13]
	v_fma_f64 v[136:137], v[152:153], v[29:30], -v[27:28]
	ds_load_b128 v[27:30], v67 offset:17408
	s_waitcnt lgkmcnt(0)
	v_mul_f64 v[31:32], v[110:111], v[27:28]
	v_add_f64 v[204:205], v[210:211], v[136:137]
	s_delay_alu instid0(VALU_DEP_2) | instskip(SKIP_1) | instid1(VALU_DEP_1)
	v_fma_f64 v[138:139], v[108:109], v[29:30], -v[31:32]
	v_mul_f64 v[29:30], v[110:111], v[29:30]
	v_fma_f64 v[108:109], v[108:109], v[27:28], v[29:30]
	s_delay_alu instid0(VALU_DEP_3) | instskip(NEXT) | instid1(VALU_DEP_2)
	v_add_f64 v[27:28], v[25:26], -v[138:139]
	v_add_f64 v[43:44], v[23:24], v[108:109]
	s_delay_alu instid0(VALU_DEP_2)
	v_mul_f64 v[29:30], v[27:28], s[26:27]
	v_mul_f64 v[31:32], v[27:28], s[0:1]
	;; [unrolled: 1-line block ×8, first 2 shown]
	v_add_f64 v[82:83], v[23:24], -v[108:109]
	v_fma_f64 v[45:46], v[43:44], s[14:15], v[29:30]
	v_fma_f64 v[47:48], v[43:44], s[14:15], -v[29:30]
	v_fma_f64 v[49:50], v[43:44], s[8:9], v[31:32]
	v_fma_f64 v[31:32], v[43:44], s[8:9], -v[31:32]
	;; [unrolled: 2-line block ×8, first 2 shown]
	v_add_f64 v[27:28], v[25:26], v[138:139]
	s_delay_alu instid0(VALU_DEP_1)
	v_mul_f64 v[29:30], v[27:28], s[14:15]
	v_mul_f64 v[63:64], v[27:28], s[8:9]
	;; [unrolled: 1-line block ×8, first 2 shown]
	v_fma_f64 v[84:85], v[82:83], s[46:47], v[29:30]
	v_fma_f64 v[86:87], v[82:83], s[26:27], v[29:30]
	;; [unrolled: 1-line block ×9, first 2 shown]
	ds_load_b128 v[27:30], v67
	v_fma_f64 v[152:153], v[82:83], s[30:31], v[80:81]
	v_fma_f64 v[63:64], v[82:83], s[0:1], v[63:64]
	;; [unrolled: 1-line block ×7, first 2 shown]
	s_waitcnt lgkmcnt(0)
	v_add_f64 v[0:1], v[27:28], v[23:24]
	v_add_f64 v[23:24], v[27:28], v[45:46]
	;; [unrolled: 1-line block ×9, first 2 shown]
	v_add_f64 v[37:38], v[18:19], -v[170:171]
	v_add_f64 v[51:52], v[100:101], v[116:117]
	v_add_f64 v[80:81], v[29:30], v[88:89]
	;; [unrolled: 1-line block ×13, first 2 shown]
	scratch_store_b64 off, v[0:1], off offset:420 ; 8-byte Folded Spill
	v_add_f64 v[0:1], v[29:30], v[25:26]
	v_add_f64 v[25:26], v[29:30], v[84:85]
	;; [unrolled: 1-line block ×3, first 2 shown]
	v_mul_f64 v[168:169], v[63:64], s[14:15]
	v_mul_f64 v[120:121], v[63:64], s[12:13]
	scratch_store_b64 off, v[0:1], off offset:428 ; 8-byte Folded Spill
	v_add_f64 v[0:1], v[27:28], v[47:48]
	v_add_f64 v[47:48], v[100:101], -v[116:117]
	scratch_store_b64 off, v[0:1], off offset:276 ; 8-byte Folded Spill
	v_add_f64 v[0:1], v[29:30], v[86:87]
	v_add_f64 v[86:87], v[27:28], v[33:34]
	v_add_f64 v[33:34], v[14:15], -v[2:3]
	scratch_store_b64 off, v[0:1], off offset:284 ; 8-byte Folded Spill
	v_add_f64 v[0:1], v[27:28], v[39:40]
	v_mul_f64 v[252:253], v[33:34], s[20:21]
	v_add_f64 v[39:40], v[18:19], v[170:171]
	scratch_store_b64 off, v[0:1], off offset:412 ; 8-byte Folded Spill
	v_add_f64 v[0:1], v[29:30], v[148:149]
	scratch_store_b64 off, v[0:1], off offset:404 ; 8-byte Folded Spill
	v_add_f64 v[0:1], v[27:28], v[59:60]
	scratch_store_b64 off, v[0:1], off offset:396 ; 8-byte Folded Spill
	v_add_f64 v[0:1], v[29:30], v[150:151]
	v_add_f64 v[150:151], v[212:213], -v[134:135]
	scratch_store_b64 off, v[0:1], off offset:388 ; 8-byte Folded Spill
	v_add_f64 v[0:1], v[27:28], v[41:42]
	scratch_store_b64 off, v[0:1], off offset:372 ; 8-byte Folded Spill
	v_add_f64 v[0:1], v[29:30], v[152:153]
	v_mul_f64 v[152:153], v[204:205], s[8:9]
	scratch_store_b64 off, v[0:1], off offset:356 ; 8-byte Folded Spill
	v_add_f64 v[0:1], v[27:28], v[61:62]
	v_add_f64 v[61:62], v[104:105], -v[112:113]
	scratch_store_b64 off, v[0:1], off offset:340 ; 8-byte Folded Spill
	v_add_f64 v[0:1], v[29:30], v[154:155]
	scratch_store_b64 off, v[0:1], off offset:324 ; 8-byte Folded Spill
	v_add_f64 v[0:1], v[27:28], v[43:44]
	;; [unrolled: 2-line block ×3, first 2 shown]
	v_add_f64 v[162:163], v[210:211], -v[136:137]
	scratch_store_b64 off, v[0:1], off offset:292 ; 8-byte Folded Spill
	v_mul_f64 v[148:149], v[162:163], s[0:1]
	v_mul_f64 v[0:1], v[61:62], s[46:47]
	s_delay_alu instid0(VALU_DEP_2) | instskip(NEXT) | instid1(VALU_DEP_1)
	v_fma_f64 v[27:28], v[142:143], s[8:9], v[148:149]
	v_add_f64 v[23:24], v[27:28], v[23:24]
	v_fma_f64 v[27:28], v[150:151], s[44:45], v[152:153]
	s_delay_alu instid0(VALU_DEP_1) | instskip(SKIP_1) | instid1(VALU_DEP_1)
	v_add_f64 v[25:26], v[27:28], v[25:26]
	v_fma_f64 v[27:28], v[214:215], s[12:13], v[216:217]
	v_add_f64 v[23:24], v[27:28], v[23:24]
	v_fma_f64 v[27:28], v[218:219], s[42:43], v[220:221]
	s_delay_alu instid0(VALU_DEP_1) | instskip(SKIP_1) | instid1(VALU_DEP_1)
	v_add_f64 v[25:26], v[27:28], v[25:26]
	;; [unrolled: 5-line block ×3, first 2 shown]
	v_fma_f64 v[27:28], v[250:251], s[22:23], v[252:253]
	v_add_f64 v[29:30], v[27:28], v[23:24]
	v_mul_f64 v[23:24], v[35:36], s[22:23]
	s_delay_alu instid0(VALU_DEP_1) | instskip(SKIP_1) | instid1(VALU_DEP_2)
	v_fma_f64 v[27:28], v[254:255], s[48:49], v[23:24]
	v_fma_f64 v[23:24], v[254:255], s[20:21], v[23:24]
	v_add_f64 v[41:42], v[27:28], v[25:26]
	v_add_f64 v[25:26], v[16:17], v[118:119]
	v_mul_f64 v[27:28], v[37:38], s[24:25]
	s_delay_alu instid0(VALU_DEP_1) | instskip(NEXT) | instid1(VALU_DEP_1)
	v_fma_f64 v[31:32], v[25:26], s[28:29], v[27:28]
	v_add_f64 v[45:46], v[31:32], v[29:30]
	v_add_f64 v[29:30], v[16:17], -v[118:119]
	v_mul_f64 v[31:32], v[39:40], s[28:29]
	s_delay_alu instid0(VALU_DEP_1) | instskip(NEXT) | instid1(VALU_DEP_1)
	v_fma_f64 v[43:44], v[29:30], s[50:51], v[31:32]
	v_add_f64 v[53:54], v[43:44], v[41:42]
	v_add_f64 v[41:42], v[21:22], v[114:115]
	v_mul_f64 v[43:44], v[47:48], s[30:31]
	s_delay_alu instid0(VALU_DEP_1) | instskip(NEXT) | instid1(VALU_DEP_1)
	v_fma_f64 v[49:50], v[41:42], s[34:35], v[43:44]
	v_add_f64 v[57:58], v[49:50], v[45:46]
	v_add_f64 v[45:46], v[21:22], -v[114:115]
	v_mul_f64 v[49:50], v[51:52], s[34:35]
	s_delay_alu instid0(VALU_DEP_1) | instskip(NEXT) | instid1(VALU_DEP_1)
	;; [unrolled: 10-line block ×3, first 2 shown]
	v_fma_f64 v[172:173], v[57:58], s[54:55], v[59:60]
	v_add_f64 v[74:75], v[172:173], v[74:75]
	v_mul_f64 v[172:173], v[162:163], s[16:17]
	s_delay_alu instid0(VALU_DEP_1) | instskip(SKIP_1) | instid1(VALU_DEP_2)
	v_fma_f64 v[174:175], v[142:143], s[18:19], v[172:173]
	v_fma_f64 v[172:173], v[142:143], s[18:19], -v[172:173]
	v_add_f64 v[82:83], v[174:175], v[82:83]
	v_mul_f64 v[174:175], v[204:205], s[18:19]
	s_delay_alu instid0(VALU_DEP_3) | instskip(NEXT) | instid1(VALU_DEP_2)
	v_add_f64 v[78:79], v[172:173], v[78:79]
	v_fma_f64 v[110:111], v[150:151], s[40:41], v[174:175]
	v_fma_f64 v[172:173], v[150:151], s[16:17], v[174:175]
	v_mul_f64 v[174:175], v[61:62], s[30:31]
	s_delay_alu instid0(VALU_DEP_3) | instskip(SKIP_1) | instid1(VALU_DEP_4)
	v_add_f64 v[80:81], v[110:111], v[80:81]
	v_mul_f64 v[110:111], v[234:235], s[24:25]
	v_add_f64 v[76:77], v[172:173], v[76:77]
	s_delay_alu instid0(VALU_DEP_2) | instskip(SKIP_1) | instid1(VALU_DEP_2)
	v_fma_f64 v[140:141], v[214:215], s[28:29], v[110:111]
	v_fma_f64 v[110:111], v[214:215], s[28:29], -v[110:111]
	v_add_f64 v[82:83], v[140:141], v[82:83]
	v_mul_f64 v[140:141], v[236:237], s[28:29]
	s_delay_alu instid0(VALU_DEP_3) | instskip(NEXT) | instid1(VALU_DEP_2)
	v_add_f64 v[78:79], v[110:111], v[78:79]
	v_fma_f64 v[144:145], v[218:219], s[50:51], v[140:141]
	v_fma_f64 v[110:111], v[218:219], s[24:25], v[140:141]
	v_fma_f64 v[140:141], v[57:58], s[46:47], v[168:169]
	s_delay_alu instid0(VALU_DEP_3) | instskip(SKIP_1) | instid1(VALU_DEP_4)
	v_add_f64 v[80:81], v[144:145], v[80:81]
	v_mul_f64 v[144:145], v[246:247], s[36:37]
	v_add_f64 v[76:77], v[110:111], v[76:77]
	s_delay_alu instid0(VALU_DEP_2) | instskip(SKIP_1) | instid1(VALU_DEP_2)
	v_fma_f64 v[146:147], v[238:239], s[38:39], v[144:145]
	v_fma_f64 v[110:111], v[238:239], s[38:39], -v[144:145]
	v_add_f64 v[82:83], v[146:147], v[82:83]
	v_mul_f64 v[146:147], v[248:249], s[38:39]
	s_delay_alu instid0(VALU_DEP_3) | instskip(NEXT) | instid1(VALU_DEP_2)
	v_add_f64 v[78:79], v[110:111], v[78:79]
	v_fma_f64 v[154:155], v[242:243], s[54:55], v[146:147]
	v_fma_f64 v[110:111], v[242:243], s[36:37], v[146:147]
	s_delay_alu instid0(VALU_DEP_2) | instskip(SKIP_1) | instid1(VALU_DEP_3)
	v_add_f64 v[80:81], v[154:155], v[80:81]
	v_mul_f64 v[154:155], v[33:34], s[52:53]
	v_add_f64 v[76:77], v[110:111], v[76:77]
	s_delay_alu instid0(VALU_DEP_2) | instskip(SKIP_1) | instid1(VALU_DEP_2)
	v_fma_f64 v[156:157], v[250:251], s[34:35], v[154:155]
	v_fma_f64 v[110:111], v[250:251], s[34:35], -v[154:155]
	v_add_f64 v[82:83], v[156:157], v[82:83]
	v_mul_f64 v[156:157], v[35:36], s[34:35]
	s_delay_alu instid0(VALU_DEP_3) | instskip(NEXT) | instid1(VALU_DEP_2)
	v_add_f64 v[78:79], v[110:111], v[78:79]
	v_fma_f64 v[158:159], v[254:255], s[30:31], v[156:157]
	v_fma_f64 v[110:111], v[254:255], s[52:53], v[156:157]
	s_delay_alu instid0(VALU_DEP_2) | instskip(SKIP_1) | instid1(VALU_DEP_3)
	;; [unrolled: 13-line block ×3, first 2 shown]
	v_add_f64 v[80:81], v[164:165], v[80:81]
	v_mul_f64 v[164:165], v[47:48], s[42:43]
	v_add_f64 v[76:77], v[110:111], v[76:77]
	s_delay_alu instid0(VALU_DEP_2) | instskip(SKIP_1) | instid1(VALU_DEP_2)
	v_fma_f64 v[166:167], v[41:42], s[12:13], v[164:165]
	v_fma_f64 v[110:111], v[41:42], s[12:13], -v[164:165]
	v_add_f64 v[82:83], v[166:167], v[82:83]
	v_mul_f64 v[166:167], v[51:52], s[12:13]
	s_delay_alu instid0(VALU_DEP_3) | instskip(NEXT) | instid1(VALU_DEP_2)
	v_add_f64 v[78:79], v[110:111], v[78:79]
	v_fma_f64 v[206:207], v[45:46], s[10:11], v[166:167]
	v_fma_f64 v[110:111], v[45:46], s[42:43], v[166:167]
	s_delay_alu instid0(VALU_DEP_2) | instskip(SKIP_2) | instid1(VALU_DEP_4)
	v_add_f64 v[206:207], v[206:207], v[80:81]
	v_fma_f64 v[80:81], v[53:54], s[14:15], v[0:1]
	v_fma_f64 v[0:1], v[53:54], s[14:15], -v[0:1]
	v_add_f64 v[110:111], v[110:111], v[76:77]
	s_delay_alu instid0(VALU_DEP_3) | instskip(NEXT) | instid1(VALU_DEP_3)
	v_add_f64 v[80:81], v[80:81], v[82:83]
	v_add_f64 v[76:77], v[0:1], v[78:79]
	v_mul_f64 v[0:1], v[162:163], s[24:25]
	s_delay_alu instid0(VALU_DEP_4) | instskip(SKIP_1) | instid1(VALU_DEP_3)
	v_add_f64 v[78:79], v[140:141], v[110:111]
	v_fma_f64 v[82:83], v[57:58], s[26:27], v[168:169]
	v_fma_f64 v[110:111], v[142:143], s[28:29], v[0:1]
	v_fma_f64 v[0:1], v[142:143], s[28:29], -v[0:1]
	s_delay_alu instid0(VALU_DEP_3) | instskip(SKIP_1) | instid1(VALU_DEP_4)
	v_add_f64 v[82:83], v[82:83], v[206:207]
	v_mul_f64 v[206:207], v[63:64], s[34:35]
	v_add_f64 v[90:91], v[110:111], v[90:91]
	v_mul_f64 v[110:111], v[204:205], s[28:29]
	v_add_f64 v[0:1], v[0:1], v[86:87]
	s_delay_alu instid0(VALU_DEP_2) | instskip(SKIP_2) | instid1(VALU_DEP_3)
	v_fma_f64 v[140:141], v[150:151], s[50:51], v[110:111]
	v_fma_f64 v[86:87], v[150:151], s[24:25], v[110:111]
	v_fma_f64 v[110:111], v[57:58], s[30:31], v[206:207]
	v_add_f64 v[88:89], v[140:141], v[88:89]
	v_mul_f64 v[140:141], v[234:235], s[54:55]
	s_delay_alu instid0(VALU_DEP_4) | instskip(NEXT) | instid1(VALU_DEP_2)
	v_add_f64 v[84:85], v[86:87], v[84:85]
	v_fma_f64 v[144:145], v[214:215], s[38:39], v[140:141]
	v_fma_f64 v[86:87], v[214:215], s[38:39], -v[140:141]
	s_delay_alu instid0(VALU_DEP_2) | instskip(SKIP_1) | instid1(VALU_DEP_3)
	v_add_f64 v[90:91], v[144:145], v[90:91]
	v_mul_f64 v[144:145], v[236:237], s[38:39]
	v_add_f64 v[0:1], v[86:87], v[0:1]
	s_delay_alu instid0(VALU_DEP_2) | instskip(SKIP_1) | instid1(VALU_DEP_2)
	v_fma_f64 v[146:147], v[218:219], s[36:37], v[144:145]
	v_fma_f64 v[86:87], v[218:219], s[54:55], v[144:145]
	v_add_f64 v[88:89], v[146:147], v[88:89]
	v_mul_f64 v[146:147], v[246:247], s[48:49]
	s_delay_alu instid0(VALU_DEP_3) | instskip(NEXT) | instid1(VALU_DEP_2)
	v_add_f64 v[84:85], v[86:87], v[84:85]
	v_fma_f64 v[154:155], v[238:239], s[22:23], v[146:147]
	v_fma_f64 v[86:87], v[238:239], s[22:23], -v[146:147]
	s_delay_alu instid0(VALU_DEP_2) | instskip(SKIP_1) | instid1(VALU_DEP_3)
	v_add_f64 v[90:91], v[154:155], v[90:91]
	v_mul_f64 v[154:155], v[248:249], s[22:23]
	v_add_f64 v[0:1], v[86:87], v[0:1]
	s_delay_alu instid0(VALU_DEP_2) | instskip(SKIP_1) | instid1(VALU_DEP_2)
	v_fma_f64 v[156:157], v[242:243], s[20:21], v[154:155]
	v_fma_f64 v[86:87], v[242:243], s[48:49], v[154:155]
	v_add_f64 v[88:89], v[156:157], v[88:89]
	v_mul_f64 v[156:157], v[33:34], s[44:45]
	s_delay_alu instid0(VALU_DEP_3) | instskip(NEXT) | instid1(VALU_DEP_2)
	;; [unrolled: 13-line block ×4, first 2 shown]
	v_add_f64 v[84:85], v[86:87], v[84:85]
	v_fma_f64 v[168:169], v[41:42], s[18:19], v[166:167]
	v_fma_f64 v[86:87], v[41:42], s[18:19], -v[166:167]
	s_delay_alu instid0(VALU_DEP_2) | instskip(SKIP_1) | instid1(VALU_DEP_3)
	v_add_f64 v[90:91], v[168:169], v[90:91]
	v_mul_f64 v[168:169], v[51:52], s[18:19]
	v_add_f64 v[0:1], v[86:87], v[0:1]
	s_delay_alu instid0(VALU_DEP_2) | instskip(SKIP_1) | instid1(VALU_DEP_2)
	v_fma_f64 v[86:87], v[45:46], s[16:17], v[168:169]
	v_fma_f64 v[172:173], v[45:46], s[40:41], v[168:169]
	v_add_f64 v[86:87], v[86:87], v[84:85]
	v_fma_f64 v[84:85], v[53:54], s[34:35], -v[174:175]
	s_delay_alu instid0(VALU_DEP_3)
	v_add_f64 v[172:173], v[172:173], v[88:89]
	v_fma_f64 v[88:89], v[53:54], s[34:35], v[174:175]
	v_mul_f64 v[174:175], v[61:62], s[44:45]
	v_add_f64 v[86:87], v[110:111], v[86:87]
	v_add_f64 v[84:85], v[84:85], v[0:1]
	v_mul_f64 v[0:1], v[162:163], s[36:37]
	v_add_f64 v[88:89], v[88:89], v[90:91]
	v_fma_f64 v[90:91], v[57:58], s[52:53], v[206:207]
	v_mul_f64 v[206:207], v[63:64], s[8:9]
	s_delay_alu instid0(VALU_DEP_4) | instskip(SKIP_1) | instid1(VALU_DEP_4)
	v_fma_f64 v[110:111], v[142:143], s[38:39], v[0:1]
	v_fma_f64 v[0:1], v[142:143], s[38:39], -v[0:1]
	v_add_f64 v[90:91], v[90:91], v[172:173]
	s_delay_alu instid0(VALU_DEP_3) | instskip(SKIP_1) | instid1(VALU_DEP_4)
	v_add_f64 v[98:99], v[110:111], v[98:99]
	v_mul_f64 v[110:111], v[204:205], s[38:39]
	v_add_f64 v[0:1], v[0:1], v[94:95]
	s_delay_alu instid0(VALU_DEP_2) | instskip(SKIP_2) | instid1(VALU_DEP_3)
	v_fma_f64 v[140:141], v[150:151], s[54:55], v[110:111]
	v_fma_f64 v[94:95], v[150:151], s[36:37], v[110:111]
	;; [unrolled: 1-line block ×3, first 2 shown]
	v_add_f64 v[96:97], v[140:141], v[96:97]
	v_mul_f64 v[140:141], v[234:235], s[48:49]
	s_delay_alu instid0(VALU_DEP_4) | instskip(NEXT) | instid1(VALU_DEP_2)
	v_add_f64 v[92:93], v[94:95], v[92:93]
	v_fma_f64 v[144:145], v[214:215], s[22:23], v[140:141]
	v_fma_f64 v[94:95], v[214:215], s[22:23], -v[140:141]
	v_mul_f64 v[140:141], v[204:205], s[34:35]
	s_delay_alu instid0(VALU_DEP_3) | instskip(SKIP_1) | instid1(VALU_DEP_4)
	v_add_f64 v[98:99], v[144:145], v[98:99]
	v_mul_f64 v[144:145], v[236:237], s[22:23]
	v_add_f64 v[0:1], v[94:95], v[0:1]
	s_delay_alu instid0(VALU_DEP_2) | instskip(SKIP_3) | instid1(VALU_DEP_4)
	v_fma_f64 v[146:147], v[218:219], s[20:21], v[144:145]
	v_fma_f64 v[94:95], v[218:219], s[48:49], v[144:145]
	;; [unrolled: 1-line block ×4, first 2 shown]
	v_add_f64 v[96:97], v[146:147], v[96:97]
	v_mul_f64 v[146:147], v[246:247], s[46:47]
	v_add_f64 v[92:93], v[94:95], v[92:93]
	v_add_f64 v[144:145], v[144:145], v[230:231]
	;; [unrolled: 1-line block ×3, first 2 shown]
	s_delay_alu instid0(VALU_DEP_4) | instskip(SKIP_2) | instid1(VALU_DEP_3)
	v_fma_f64 v[154:155], v[238:239], s[14:15], v[146:147]
	v_fma_f64 v[94:95], v[238:239], s[14:15], -v[146:147]
	v_mul_f64 v[146:147], v[234:235], s[44:45]
	v_add_f64 v[98:99], v[154:155], v[98:99]
	v_mul_f64 v[154:155], v[248:249], s[14:15]
	s_delay_alu instid0(VALU_DEP_4) | instskip(NEXT) | instid1(VALU_DEP_2)
	v_add_f64 v[0:1], v[94:95], v[0:1]
	v_fma_f64 v[156:157], v[242:243], s[26:27], v[154:155]
	v_fma_f64 v[94:95], v[242:243], s[46:47], v[154:155]
	;; [unrolled: 1-line block ×3, first 2 shown]
	s_delay_alu instid0(VALU_DEP_3) | instskip(SKIP_1) | instid1(VALU_DEP_4)
	v_add_f64 v[96:97], v[156:157], v[96:97]
	v_mul_f64 v[156:157], v[33:34], s[10:11]
	v_add_f64 v[92:93], v[94:95], v[92:93]
	s_delay_alu instid0(VALU_DEP_2) | instskip(SKIP_1) | instid1(VALU_DEP_2)
	v_fma_f64 v[158:159], v[250:251], s[12:13], v[156:157]
	v_fma_f64 v[94:95], v[250:251], s[12:13], -v[156:157]
	v_add_f64 v[98:99], v[158:159], v[98:99]
	v_mul_f64 v[158:159], v[35:36], s[12:13]
	s_delay_alu instid0(VALU_DEP_3) | instskip(NEXT) | instid1(VALU_DEP_2)
	v_add_f64 v[0:1], v[94:95], v[0:1]
	v_fma_f64 v[160:161], v[254:255], s[42:43], v[158:159]
	v_fma_f64 v[94:95], v[254:255], s[10:11], v[158:159]
	s_delay_alu instid0(VALU_DEP_2) | instskip(SKIP_1) | instid1(VALU_DEP_3)
	v_add_f64 v[96:97], v[160:161], v[96:97]
	v_mul_f64 v[160:161], v[37:38], s[30:31]
	v_add_f64 v[92:93], v[94:95], v[92:93]
	s_delay_alu instid0(VALU_DEP_2) | instskip(SKIP_1) | instid1(VALU_DEP_2)
	v_fma_f64 v[164:165], v[25:26], s[34:35], v[160:161]
	v_fma_f64 v[94:95], v[25:26], s[34:35], -v[160:161]
	v_add_f64 v[98:99], v[164:165], v[98:99]
	v_mul_f64 v[164:165], v[39:40], s[34:35]
	s_delay_alu instid0(VALU_DEP_3) | instskip(NEXT) | instid1(VALU_DEP_2)
	v_add_f64 v[0:1], v[94:95], v[0:1]
	v_fma_f64 v[166:167], v[29:30], s[52:53], v[164:165]
	v_fma_f64 v[94:95], v[29:30], s[30:31], v[164:165]
	s_delay_alu instid0(VALU_DEP_2) | instskip(SKIP_1) | instid1(VALU_DEP_3)
	;; [unrolled: 13-line block ×3, first 2 shown]
	v_add_f64 v[94:95], v[94:95], v[92:93]
	v_fma_f64 v[92:93], v[53:54], s[8:9], -v[174:175]
	v_add_f64 v[172:173], v[172:173], v[96:97]
	v_fma_f64 v[96:97], v[53:54], s[8:9], v[174:175]
	s_delay_alu instid0(VALU_DEP_4) | instskip(NEXT) | instid1(VALU_DEP_4)
	v_add_f64 v[94:95], v[110:111], v[94:95]
	v_add_f64 v[92:93], v[92:93], v[0:1]
	v_mul_f64 v[0:1], v[162:163], s[52:53]
	s_delay_alu instid0(VALU_DEP_4) | instskip(SKIP_1) | instid1(VALU_DEP_3)
	v_add_f64 v[96:97], v[96:97], v[98:99]
	v_fma_f64 v[98:99], v[57:58], s[0:1], v[206:207]
	v_fma_f64 v[110:111], v[142:143], s[34:35], v[0:1]
	v_fma_f64 v[0:1], v[142:143], s[34:35], -v[0:1]
	s_delay_alu instid0(VALU_DEP_3) | instskip(NEXT) | instid1(VALU_DEP_3)
	v_add_f64 v[98:99], v[98:99], v[172:173]
	v_add_f64 v[110:111], v[110:111], v[232:233]
	s_delay_alu instid0(VALU_DEP_3) | instskip(NEXT) | instid1(VALU_DEP_2)
	v_add_f64 v[0:1], v[0:1], v[228:229]
	v_add_f64 v[110:111], v[154:155], v[110:111]
	v_mul_f64 v[154:155], v[236:237], s[8:9]
	s_delay_alu instid0(VALU_DEP_1) | instskip(NEXT) | instid1(VALU_DEP_1)
	v_fma_f64 v[156:157], v[218:219], s[0:1], v[154:155]
	v_add_f64 v[144:145], v[156:157], v[144:145]
	v_mul_f64 v[156:157], v[246:247], s[10:11]
	s_delay_alu instid0(VALU_DEP_1) | instskip(NEXT) | instid1(VALU_DEP_1)
	v_fma_f64 v[158:159], v[238:239], s[12:13], v[156:157]
	;; [unrolled: 4-line block ×10, first 2 shown]
	v_add_f64 v[230:231], v[230:231], v[110:111]
	v_mul_f64 v[110:111], v[63:64], s[28:29]
	s_delay_alu instid0(VALU_DEP_1) | instskip(SKIP_1) | instid1(VALU_DEP_2)
	v_fma_f64 v[232:233], v[57:58], s[50:51], v[110:111]
	v_fma_f64 v[110:111], v[57:58], s[24:25], v[110:111]
	v_add_f64 v[232:233], v[232:233], v[144:145]
	v_fma_f64 v[144:145], v[214:215], s[8:9], -v[146:147]
	v_mul_f64 v[146:147], v[234:235], s[26:27]
	s_delay_alu instid0(VALU_DEP_2) | instskip(SKIP_1) | instid1(VALU_DEP_3)
	v_add_f64 v[0:1], v[144:145], v[0:1]
	v_fma_f64 v[144:145], v[218:219], s[44:45], v[154:155]
	v_fma_f64 v[154:155], v[214:215], s[14:15], v[146:147]
	s_delay_alu instid0(VALU_DEP_2) | instskip(SKIP_1) | instid1(VALU_DEP_1)
	v_add_f64 v[140:141], v[144:145], v[140:141]
	v_fma_f64 v[144:145], v[238:239], s[12:13], -v[156:157]
	v_add_f64 v[0:1], v[144:145], v[0:1]
	v_fma_f64 v[144:145], v[242:243], s[10:11], v[158:159]
	s_delay_alu instid0(VALU_DEP_1) | instskip(SKIP_1) | instid1(VALU_DEP_1)
	v_add_f64 v[140:141], v[144:145], v[140:141]
	v_fma_f64 v[144:145], v[250:251], s[38:39], -v[160:161]
	v_add_f64 v[0:1], v[144:145], v[0:1]
	v_fma_f64 v[144:145], v[254:255], s[36:37], v[164:165]
	s_delay_alu instid0(VALU_DEP_1) | instskip(SKIP_1) | instid1(VALU_DEP_1)
	;; [unrolled: 5-line block ×3, first 2 shown]
	v_add_f64 v[140:141], v[144:145], v[140:141]
	v_fma_f64 v[144:145], v[41:42], s[14:15], -v[172:173]
	v_add_f64 v[0:1], v[144:145], v[0:1]
	v_fma_f64 v[144:145], v[45:46], s[26:27], v[174:175]
	s_delay_alu instid0(VALU_DEP_1) | instskip(SKIP_1) | instid1(VALU_DEP_2)
	v_add_f64 v[140:141], v[144:145], v[140:141]
	v_fma_f64 v[144:145], v[53:54], s[28:29], -v[206:207]
	v_add_f64 v[228:229], v[110:111], v[140:141]
	v_mul_f64 v[110:111], v[162:163], s[48:49]
	s_delay_alu instid0(VALU_DEP_3) | instskip(SKIP_1) | instid1(VALU_DEP_3)
	v_add_f64 v[226:227], v[144:145], v[0:1]
	v_mul_f64 v[140:141], v[204:205], s[22:23]
	v_fma_f64 v[0:1], v[142:143], s[22:23], v[110:111]
	s_delay_alu instid0(VALU_DEP_2) | instskip(NEXT) | instid1(VALU_DEP_2)
	v_fma_f64 v[144:145], v[150:151], s[20:21], v[140:141]
	v_add_f64 v[0:1], v[0:1], v[224:225]
	s_delay_alu instid0(VALU_DEP_2) | instskip(NEXT) | instid1(VALU_DEP_2)
	v_add_f64 v[144:145], v[144:145], v[222:223]
	v_add_f64 v[0:1], v[154:155], v[0:1]
	v_mul_f64 v[154:155], v[236:237], s[14:15]
	s_delay_alu instid0(VALU_DEP_1) | instskip(NEXT) | instid1(VALU_DEP_1)
	v_fma_f64 v[156:157], v[218:219], s[46:47], v[154:155]
	v_add_f64 v[144:145], v[156:157], v[144:145]
	v_mul_f64 v[156:157], v[246:247], s[30:31]
	s_delay_alu instid0(VALU_DEP_1) | instskip(NEXT) | instid1(VALU_DEP_1)
	v_fma_f64 v[158:159], v[238:239], s[34:35], v[156:157]
	v_add_f64 v[0:1], v[158:159], v[0:1]
	v_mul_f64 v[158:159], v[248:249], s[34:35]
	s_delay_alu instid0(VALU_DEP_1) | instskip(NEXT) | instid1(VALU_DEP_1)
	v_fma_f64 v[160:161], v[242:243], s[52:53], v[158:159]
	v_add_f64 v[144:145], v[160:161], v[144:145]
	v_mul_f64 v[160:161], v[33:34], s[40:41]
	s_delay_alu instid0(VALU_DEP_1) | instskip(NEXT) | instid1(VALU_DEP_1)
	v_fma_f64 v[164:165], v[250:251], s[18:19], v[160:161]
	v_add_f64 v[0:1], v[164:165], v[0:1]
	v_mul_f64 v[164:165], v[35:36], s[18:19]
	s_delay_alu instid0(VALU_DEP_1) | instskip(NEXT) | instid1(VALU_DEP_1)
	v_fma_f64 v[166:167], v[254:255], s[16:17], v[164:165]
	v_add_f64 v[144:145], v[166:167], v[144:145]
	v_mul_f64 v[166:167], v[37:38], s[0:1]
	s_delay_alu instid0(VALU_DEP_1) | instskip(NEXT) | instid1(VALU_DEP_1)
	v_fma_f64 v[168:169], v[25:26], s[8:9], v[166:167]
	v_add_f64 v[0:1], v[168:169], v[0:1]
	v_mul_f64 v[168:169], v[39:40], s[8:9]
	s_delay_alu instid0(VALU_DEP_1) | instskip(NEXT) | instid1(VALU_DEP_1)
	v_fma_f64 v[172:173], v[29:30], s[44:45], v[168:169]
	v_add_f64 v[144:145], v[172:173], v[144:145]
	v_mul_f64 v[172:173], v[47:48], s[36:37]
	s_delay_alu instid0(VALU_DEP_1) | instskip(NEXT) | instid1(VALU_DEP_1)
	v_fma_f64 v[174:175], v[41:42], s[38:39], v[172:173]
	v_add_f64 v[0:1], v[174:175], v[0:1]
	v_mul_f64 v[174:175], v[51:52], s[38:39]
	s_delay_alu instid0(VALU_DEP_1) | instskip(NEXT) | instid1(VALU_DEP_1)
	v_fma_f64 v[206:207], v[45:46], s[54:55], v[174:175]
	v_add_f64 v[144:145], v[206:207], v[144:145]
	v_mul_f64 v[206:207], v[61:62], s[42:43]
	s_delay_alu instid0(VALU_DEP_1) | instskip(NEXT) | instid1(VALU_DEP_1)
	v_fma_f64 v[222:223], v[53:54], s[12:13], v[206:207]
	v_add_f64 v[222:223], v[222:223], v[0:1]
	v_fma_f64 v[0:1], v[57:58], s[10:11], v[120:121]
	s_delay_alu instid0(VALU_DEP_1)
	v_add_f64 v[224:225], v[0:1], v[144:145]
	s_clause 0x1
	scratch_load_b64 v[0:1], off, off offset:420
	scratch_load_b64 v[144:145], off, off offset:428
	s_waitcnt vmcnt(0)
	v_add_f64 v[144:145], v[144:145], v[210:211]
	s_delay_alu instid0(VALU_DEP_1) | instskip(NEXT) | instid1(VALU_DEP_1)
	v_add_f64 v[6:7], v[144:145], v[6:7]
	v_add_f64 v[6:7], v[6:7], v[10:11]
	v_fma_f64 v[10:11], v[57:58], s[42:43], v[120:121]
	s_delay_alu instid0(VALU_DEP_2) | instskip(SKIP_1) | instid1(VALU_DEP_2)
	v_add_f64 v[6:7], v[6:7], v[14:15]
	v_mul_f64 v[14:15], v[204:205], s[12:13]
	v_add_f64 v[6:7], v[6:7], v[18:19]
	s_delay_alu instid0(VALU_DEP_1) | instskip(NEXT) | instid1(VALU_DEP_1)
	v_add_f64 v[6:7], v[6:7], v[100:101]
	v_add_f64 v[6:7], v[6:7], v[104:105]
	s_delay_alu instid0(VALU_DEP_1) | instskip(NEXT) | instid1(VALU_DEP_1)
	v_add_f64 v[6:7], v[6:7], v[112:113]
	;; [unrolled: 3-line block ×3, first 2 shown]
	v_add_f64 v[2:3], v[6:7], v[2:3]
	scratch_load_b64 v[6:7], off, off offset:412 ; 8-byte Folded Reload
	v_add_f64 v[0:1], v[0:1], v[212:213]
	v_add_f64 v[2:3], v[2:3], v[128:129]
	s_delay_alu instid0(VALU_DEP_2) | instskip(NEXT) | instid1(VALU_DEP_2)
	v_add_f64 v[0:1], v[0:1], v[208:209]
	v_add_f64 v[2:3], v[2:3], v[132:133]
	s_delay_alu instid0(VALU_DEP_2) | instskip(SKIP_4) | instid1(VALU_DEP_3)
	v_add_f64 v[0:1], v[0:1], v[8:9]
	scratch_load_b64 v[8:9], off, off offset:404 ; 8-byte Folded Reload
	v_add_f64 v[2:3], v[2:3], v[136:137]
	v_add_f64 v[0:1], v[0:1], v[12:13]
	v_mul_f64 v[12:13], v[162:163], s[42:43]
	v_add_f64 v[2:3], v[2:3], v[138:139]
	s_delay_alu instid0(VALU_DEP_3) | instskip(SKIP_2) | instid1(VALU_DEP_1)
	v_add_f64 v[0:1], v[0:1], v[16:17]
	scratch_load_b64 v[16:17], off, off offset:388 ; 8-byte Folded Reload
	v_add_f64 v[0:1], v[0:1], v[21:22]
	v_add_f64 v[0:1], v[0:1], v[102:103]
	s_delay_alu instid0(VALU_DEP_1) | instskip(NEXT) | instid1(VALU_DEP_1)
	v_add_f64 v[0:1], v[0:1], v[106:107]
	v_add_f64 v[0:1], v[0:1], v[114:115]
	s_delay_alu instid0(VALU_DEP_1) | instskip(NEXT) | instid1(VALU_DEP_1)
	v_add_f64 v[0:1], v[0:1], v[118:119]
	v_add_f64 v[0:1], v[0:1], v[4:5]
	v_fma_f64 v[4:5], v[142:143], s[22:23], -v[110:111]
	s_delay_alu instid0(VALU_DEP_2) | instskip(SKIP_1) | instid1(VALU_DEP_2)
	v_add_f64 v[0:1], v[0:1], v[126:127]
	s_waitcnt vmcnt(2)
	v_add_f64 v[4:5], v[4:5], v[6:7]
	v_fma_f64 v[6:7], v[150:151], s[48:49], v[140:141]
	s_delay_alu instid0(VALU_DEP_3) | instskip(SKIP_1) | instid1(VALU_DEP_2)
	v_add_f64 v[0:1], v[0:1], v[130:131]
	s_waitcnt vmcnt(1)
	v_add_f64 v[6:7], v[6:7], v[8:9]
	v_fma_f64 v[8:9], v[214:215], s[14:15], -v[146:147]
	s_delay_alu instid0(VALU_DEP_3) | instskip(NEXT) | instid1(VALU_DEP_2)
	v_add_f64 v[0:1], v[0:1], v[134:135]
	v_add_f64 v[4:5], v[8:9], v[4:5]
	v_fma_f64 v[8:9], v[218:219], s[26:27], v[154:155]
	s_delay_alu instid0(VALU_DEP_3) | instskip(NEXT) | instid1(VALU_DEP_2)
	v_add_f64 v[0:1], v[0:1], v[108:109]
	v_add_f64 v[6:7], v[8:9], v[6:7]
	v_fma_f64 v[8:9], v[238:239], s[34:35], -v[156:157]
	s_delay_alu instid0(VALU_DEP_1) | instskip(SKIP_1) | instid1(VALU_DEP_1)
	v_add_f64 v[4:5], v[8:9], v[4:5]
	v_fma_f64 v[8:9], v[242:243], s[30:31], v[158:159]
	v_add_f64 v[6:7], v[8:9], v[6:7]
	v_fma_f64 v[8:9], v[250:251], s[18:19], -v[160:161]
	s_delay_alu instid0(VALU_DEP_1) | instskip(SKIP_1) | instid1(VALU_DEP_1)
	v_add_f64 v[4:5], v[8:9], v[4:5]
	v_fma_f64 v[8:9], v[254:255], s[40:41], v[164:165]
	;; [unrolled: 5-line block ×4, first 2 shown]
	v_add_f64 v[6:7], v[8:9], v[6:7]
	v_fma_f64 v[8:9], v[53:54], s[12:13], -v[206:207]
	s_delay_alu instid0(VALU_DEP_2)
	v_add_f64 v[6:7], v[10:11], v[6:7]
	scratch_load_b64 v[10:11], off, off offset:396 ; 8-byte Folded Reload
	v_add_f64 v[4:5], v[8:9], v[4:5]
	v_fma_f64 v[8:9], v[142:143], s[12:13], v[12:13]
	v_fma_f64 v[12:13], v[142:143], s[12:13], -v[12:13]
	s_waitcnt vmcnt(0)
	s_delay_alu instid0(VALU_DEP_2) | instskip(SKIP_2) | instid1(VALU_DEP_2)
	v_add_f64 v[8:9], v[8:9], v[10:11]
	v_fma_f64 v[10:11], v[150:151], s[10:11], v[14:15]
	v_fma_f64 v[14:15], v[150:151], s[42:43], v[14:15]
	v_add_f64 v[10:11], v[10:11], v[16:17]
	v_mul_f64 v[16:17], v[234:235], s[16:17]
	s_delay_alu instid0(VALU_DEP_1) | instskip(SKIP_1) | instid1(VALU_DEP_2)
	v_fma_f64 v[18:19], v[214:215], s[18:19], v[16:17]
	v_fma_f64 v[16:17], v[214:215], s[18:19], -v[16:17]
	v_add_f64 v[8:9], v[18:19], v[8:9]
	v_mul_f64 v[18:19], v[236:237], s[18:19]
	s_delay_alu instid0(VALU_DEP_1) | instskip(NEXT) | instid1(VALU_DEP_1)
	v_fma_f64 v[21:22], v[218:219], s[40:41], v[18:19]
	v_add_f64 v[10:11], v[21:22], v[10:11]
	v_mul_f64 v[21:22], v[246:247], s[50:51]
	s_delay_alu instid0(VALU_DEP_1) | instskip(NEXT) | instid1(VALU_DEP_1)
	v_fma_f64 v[100:101], v[238:239], s[28:29], v[21:22]
	;; [unrolled: 4-line block ×3, first 2 shown]
	v_add_f64 v[10:11], v[102:103], v[10:11]
	v_mul_f64 v[102:103], v[33:34], s[26:27]
	v_mul_f64 v[33:34], v[33:34], s[24:25]
	s_delay_alu instid0(VALU_DEP_2) | instskip(NEXT) | instid1(VALU_DEP_1)
	v_fma_f64 v[104:105], v[250:251], s[14:15], v[102:103]
	v_add_f64 v[8:9], v[104:105], v[8:9]
	v_mul_f64 v[104:105], v[35:36], s[14:15]
	v_mul_f64 v[35:36], v[35:36], s[28:29]
	s_delay_alu instid0(VALU_DEP_2) | instskip(NEXT) | instid1(VALU_DEP_1)
	v_fma_f64 v[106:107], v[254:255], s[46:47], v[104:105]
	v_add_f64 v[10:11], v[106:107], v[10:11]
	v_mul_f64 v[106:107], v[37:38], s[36:37]
	v_mul_f64 v[37:38], v[37:38], s[42:43]
	s_delay_alu instid0(VALU_DEP_2) | instskip(NEXT) | instid1(VALU_DEP_1)
	v_fma_f64 v[108:109], v[25:26], s[38:39], v[106:107]
	v_add_f64 v[8:9], v[108:109], v[8:9]
	v_mul_f64 v[108:109], v[39:40], s[38:39]
	v_mul_f64 v[39:40], v[39:40], s[12:13]
	s_delay_alu instid0(VALU_DEP_2) | instskip(NEXT) | instid1(VALU_DEP_1)
	v_fma_f64 v[110:111], v[29:30], s[54:55], v[108:109]
	v_add_f64 v[10:11], v[110:111], v[10:11]
	v_mul_f64 v[110:111], v[47:48], s[44:45]
	v_mul_f64 v[47:48], v[47:48], s[20:21]
	s_delay_alu instid0(VALU_DEP_2) | instskip(NEXT) | instid1(VALU_DEP_1)
	v_fma_f64 v[112:113], v[41:42], s[8:9], v[110:111]
	v_add_f64 v[8:9], v[112:113], v[8:9]
	v_mul_f64 v[112:113], v[51:52], s[8:9]
	v_mul_f64 v[51:52], v[51:52], s[22:23]
	s_delay_alu instid0(VALU_DEP_2) | instskip(NEXT) | instid1(VALU_DEP_1)
	v_fma_f64 v[114:115], v[45:46], s[0:1], v[112:113]
	v_add_f64 v[10:11], v[114:115], v[10:11]
	v_mul_f64 v[114:115], v[61:62], s[20:21]
	v_mul_f64 v[61:62], v[61:62], s[40:41]
	s_delay_alu instid0(VALU_DEP_2) | instskip(NEXT) | instid1(VALU_DEP_1)
	v_fma_f64 v[116:117], v[53:54], s[22:23], v[114:115]
	v_add_f64 v[8:9], v[116:117], v[8:9]
	v_mul_f64 v[116:117], v[63:64], s[22:23]
	v_mul_f64 v[63:64], v[63:64], s[18:19]
	s_delay_alu instid0(VALU_DEP_2) | instskip(NEXT) | instid1(VALU_DEP_1)
	v_fma_f64 v[118:119], v[57:58], s[48:49], v[116:117]
	v_add_f64 v[10:11], v[118:119], v[10:11]
	scratch_load_b64 v[118:119], off, off offset:372 ; 8-byte Folded Reload
	s_waitcnt vmcnt(0)
	v_add_f64 v[12:13], v[12:13], v[118:119]
	scratch_load_b64 v[118:119], off, off offset:356 ; 8-byte Folded Reload
	v_add_f64 v[12:13], v[16:17], v[12:13]
	v_fma_f64 v[16:17], v[218:219], s[16:17], v[18:19]
	v_fma_f64 v[18:19], v[57:58], s[20:21], v[116:117]
	s_waitcnt vmcnt(0)
	v_add_f64 v[14:15], v[14:15], v[118:119]
	s_delay_alu instid0(VALU_DEP_1) | instskip(SKIP_2) | instid1(VALU_DEP_2)
	v_add_f64 v[14:15], v[16:17], v[14:15]
	v_fma_f64 v[16:17], v[238:239], s[28:29], -v[21:22]
	v_mul_f64 v[21:22], v[162:163], s[46:47]
	v_add_f64 v[12:13], v[16:17], v[12:13]
	v_fma_f64 v[16:17], v[242:243], s[50:51], v[100:101]
	v_mul_f64 v[100:101], v[204:205], s[14:15]
	s_delay_alu instid0(VALU_DEP_2) | instskip(SKIP_4) | instid1(VALU_DEP_1)
	v_add_f64 v[14:15], v[16:17], v[14:15]
	v_fma_f64 v[16:17], v[250:251], s[14:15], -v[102:103]
	scratch_load_b64 v[102:103], off, off offset:324 ; 8-byte Folded Reload
	v_add_f64 v[12:13], v[16:17], v[12:13]
	v_fma_f64 v[16:17], v[254:255], s[26:27], v[104:105]
	v_add_f64 v[14:15], v[16:17], v[14:15]
	v_fma_f64 v[16:17], v[25:26], s[38:39], -v[106:107]
	s_delay_alu instid0(VALU_DEP_1) | instskip(SKIP_1) | instid1(VALU_DEP_1)
	v_add_f64 v[12:13], v[16:17], v[12:13]
	v_fma_f64 v[16:17], v[29:30], s[36:37], v[108:109]
	v_add_f64 v[14:15], v[16:17], v[14:15]
	v_fma_f64 v[16:17], v[41:42], s[8:9], -v[110:111]
	s_delay_alu instid0(VALU_DEP_1) | instskip(SKIP_1) | instid1(VALU_DEP_1)
	v_add_f64 v[12:13], v[16:17], v[12:13]
	v_fma_f64 v[16:17], v[45:46], s[44:45], v[112:113]
	v_add_f64 v[14:15], v[16:17], v[14:15]
	v_fma_f64 v[16:17], v[53:54], s[22:23], -v[114:115]
	s_delay_alu instid0(VALU_DEP_2)
	v_add_f64 v[14:15], v[18:19], v[14:15]
	scratch_load_b64 v[18:19], off, off offset:340 ; 8-byte Folded Reload
	v_add_f64 v[12:13], v[16:17], v[12:13]
	v_fma_f64 v[16:17], v[142:143], s[14:15], v[21:22]
	v_fma_f64 v[21:22], v[142:143], s[14:15], -v[21:22]
	s_waitcnt vmcnt(0)
	s_delay_alu instid0(VALU_DEP_2) | instskip(SKIP_2) | instid1(VALU_DEP_2)
	v_add_f64 v[16:17], v[16:17], v[18:19]
	v_fma_f64 v[18:19], v[150:151], s[26:27], v[100:101]
	v_fma_f64 v[100:101], v[150:151], s[46:47], v[100:101]
	v_add_f64 v[18:19], v[18:19], v[102:103]
	v_mul_f64 v[102:103], v[234:235], s[30:31]
	s_delay_alu instid0(VALU_DEP_1) | instskip(SKIP_1) | instid1(VALU_DEP_2)
	v_fma_f64 v[104:105], v[214:215], s[34:35], v[102:103]
	v_fma_f64 v[102:103], v[214:215], s[34:35], -v[102:103]
	v_add_f64 v[16:17], v[104:105], v[16:17]
	v_mul_f64 v[104:105], v[236:237], s[34:35]
	s_delay_alu instid0(VALU_DEP_1) | instskip(NEXT) | instid1(VALU_DEP_1)
	v_fma_f64 v[106:107], v[218:219], s[52:53], v[104:105]
	v_add_f64 v[18:19], v[106:107], v[18:19]
	v_mul_f64 v[106:107], v[246:247], s[44:45]
	s_delay_alu instid0(VALU_DEP_1) | instskip(NEXT) | instid1(VALU_DEP_1)
	v_fma_f64 v[108:109], v[238:239], s[8:9], v[106:107]
	;; [unrolled: 4-line block ×3, first 2 shown]
	v_add_f64 v[18:19], v[110:111], v[18:19]
	v_fma_f64 v[110:111], v[250:251], s[28:29], v[33:34]
	v_fma_f64 v[33:34], v[250:251], s[28:29], -v[33:34]
	s_delay_alu instid0(VALU_DEP_2) | instskip(SKIP_1) | instid1(VALU_DEP_1)
	v_add_f64 v[16:17], v[110:111], v[16:17]
	v_fma_f64 v[110:111], v[254:255], s[50:51], v[35:36]
	v_add_f64 v[18:19], v[110:111], v[18:19]
	v_fma_f64 v[110:111], v[25:26], s[12:13], v[37:38]
	s_delay_alu instid0(VALU_DEP_1) | instskip(SKIP_1) | instid1(VALU_DEP_1)
	v_add_f64 v[16:17], v[110:111], v[16:17]
	v_fma_f64 v[110:111], v[29:30], s[10:11], v[39:40]
	v_add_f64 v[18:19], v[110:111], v[18:19]
	v_fma_f64 v[110:111], v[41:42], s[22:23], v[47:48]
	s_delay_alu instid0(VALU_DEP_1) | instskip(SKIP_1) | instid1(VALU_DEP_1)
	;; [unrolled: 5-line block ×3, first 2 shown]
	v_add_f64 v[16:17], v[110:111], v[16:17]
	v_fma_f64 v[110:111], v[57:58], s[16:17], v[63:64]
	v_add_f64 v[18:19], v[110:111], v[18:19]
	scratch_load_b64 v[110:111], off, off offset:308 ; 8-byte Folded Reload
	s_waitcnt vmcnt(0)
	v_add_f64 v[21:22], v[21:22], v[110:111]
	scratch_load_b64 v[110:111], off, off offset:292 ; 8-byte Folded Reload
	v_add_f64 v[21:22], v[102:103], v[21:22]
	v_fma_f64 v[102:103], v[218:219], s[30:31], v[104:105]
	s_waitcnt vmcnt(0)
	v_add_f64 v[100:101], v[100:101], v[110:111]
	s_delay_alu instid0(VALU_DEP_1) | instskip(SKIP_1) | instid1(VALU_DEP_1)
	v_add_f64 v[100:101], v[102:103], v[100:101]
	v_fma_f64 v[102:103], v[238:239], s[8:9], -v[106:107]
	v_add_f64 v[21:22], v[102:103], v[21:22]
	v_fma_f64 v[102:103], v[242:243], s[44:45], v[108:109]
	s_delay_alu instid0(VALU_DEP_2) | instskip(SKIP_2) | instid1(VALU_DEP_4)
	v_add_f64 v[21:22], v[33:34], v[21:22]
	v_fma_f64 v[33:34], v[254:255], s[24:25], v[35:36]
	v_fma_f64 v[35:36], v[25:26], s[12:13], -v[37:38]
	v_add_f64 v[100:101], v[102:103], v[100:101]
	v_fma_f64 v[37:38], v[57:58], s[40:41], v[63:64]
	v_fma_f64 v[25:26], v[25:26], s[28:29], -v[27:28]
	v_fma_f64 v[27:28], v[29:30], s[24:25], v[31:32]
	v_add_f64 v[21:22], v[35:36], v[21:22]
	v_fma_f64 v[35:36], v[29:30], s[42:43], v[39:40]
	scratch_load_b64 v[39:40], off, off offset:276 ; 8-byte Folded Reload
	v_add_f64 v[33:34], v[33:34], v[100:101]
	s_delay_alu instid0(VALU_DEP_1) | instskip(SKIP_2) | instid1(VALU_DEP_2)
	v_add_f64 v[33:34], v[35:36], v[33:34]
	v_fma_f64 v[35:36], v[41:42], s[22:23], -v[47:48]
	v_fma_f64 v[47:48], v[218:219], s[10:11], v[220:221]
	v_add_f64 v[21:22], v[35:36], v[21:22]
	v_fma_f64 v[35:36], v[45:46], s[20:21], v[51:52]
	s_delay_alu instid0(VALU_DEP_1) | instskip(SKIP_1) | instid1(VALU_DEP_2)
	v_add_f64 v[35:36], v[35:36], v[33:34]
	v_fma_f64 v[33:34], v[53:54], s[18:19], -v[61:62]
	v_add_f64 v[35:36], v[37:38], v[35:36]
	s_delay_alu instid0(VALU_DEP_2) | instskip(SKIP_3) | instid1(VALU_DEP_2)
	v_add_f64 v[33:34], v[33:34], v[21:22]
	v_fma_f64 v[21:22], v[142:143], s[8:9], -v[148:149]
	v_fma_f64 v[37:38], v[150:151], s[0:1], v[152:153]
	s_waitcnt vmcnt(0)
	v_add_f64 v[21:22], v[21:22], v[39:40]
	scratch_load_b64 v[39:40], off, off offset:284 ; 8-byte Folded Reload
	s_waitcnt vmcnt(0)
	s_waitcnt_vscnt null, 0x0
	s_barrier
	buffer_gl0_inv
	ds_store_b128 v65, v[0:3]
	ds_store_b128 v65, v[72:75] offset:544
	ds_store_b128 v65, v[80:83] offset:1088
	;; [unrolled: 1-line block ×8, first 2 shown]
	v_add_f64 v[37:38], v[37:38], v[39:40]
	v_fma_f64 v[39:40], v[214:215], s[12:13], -v[216:217]
	s_delay_alu instid0(VALU_DEP_2) | instskip(NEXT) | instid1(VALU_DEP_2)
	v_add_f64 v[37:38], v[47:48], v[37:38]
	v_add_f64 v[21:22], v[39:40], v[21:22]
	v_fma_f64 v[39:40], v[238:239], s[18:19], -v[240:241]
	v_fma_f64 v[47:48], v[242:243], s[16:17], v[244:245]
	s_delay_alu instid0(VALU_DEP_2) | instskip(NEXT) | instid1(VALU_DEP_2)
	v_add_f64 v[21:22], v[39:40], v[21:22]
	v_add_f64 v[37:38], v[47:48], v[37:38]
	v_fma_f64 v[39:40], v[250:251], s[22:23], -v[252:253]
	s_delay_alu instid0(VALU_DEP_2) | instskip(NEXT) | instid1(VALU_DEP_2)
	v_add_f64 v[23:24], v[23:24], v[37:38]
	v_add_f64 v[21:22], v[39:40], v[21:22]
	s_delay_alu instid0(VALU_DEP_2) | instskip(NEXT) | instid1(VALU_DEP_2)
	v_add_f64 v[23:24], v[27:28], v[23:24]
	v_add_f64 v[21:22], v[25:26], v[21:22]
	v_fma_f64 v[25:26], v[41:42], s[34:35], -v[43:44]
	v_fma_f64 v[27:28], v[45:46], s[30:31], v[49:50]
	s_delay_alu instid0(VALU_DEP_2) | instskip(NEXT) | instid1(VALU_DEP_2)
	v_add_f64 v[21:22], v[25:26], v[21:22]
	v_add_f64 v[23:24], v[27:28], v[23:24]
	v_fma_f64 v[25:26], v[53:54], s[38:39], -v[55:56]
	v_fma_f64 v[27:28], v[57:58], s[36:37], v[59:60]
	s_delay_alu instid0(VALU_DEP_2) | instskip(NEXT) | instid1(VALU_DEP_2)
	v_add_f64 v[100:101], v[25:26], v[21:22]
	v_add_f64 v[102:103], v[27:28], v[23:24]
	ds_store_b128 v65, v[33:36] offset:4896
	ds_store_b128 v65, v[12:15] offset:5440
	ds_store_b128 v65, v[4:7] offset:5984
	ds_store_b128 v65, v[226:229] offset:6528
	ds_store_b128 v65, v[92:95] offset:7072
	ds_store_b128 v65, v[84:87] offset:7616
	ds_store_b128 v65, v[76:79] offset:8160
	ds_store_b128 v65, v[100:103] offset:8704
	s_waitcnt lgkmcnt(0)
	s_barrier
	buffer_gl0_inv
	ds_load_b128 v[72:75], v67
	ds_load_b128 v[0:3], v67 offset:9248
	ds_load_b128 v[76:79], v67 offset:1088
	;; [unrolled: 1-line block ×15, first 2 shown]
	v_add_nc_u32_e32 v22, 0x1980, v67
	v_add_nc_u32_e32 v21, 0x1dc0, v67
	s_and_saveexec_b32 s0, vcc_lo
	s_cbranch_execz .LBB0_15
; %bb.14:
	ds_load_b128 v[100:103], v67 offset:8704
	ds_load_b128 v[68:71], v67 offset:17952
.LBB0_15:
	s_or_b32 exec_lo, exec_lo, s0
	s_waitcnt lgkmcnt(14)
	v_mul_f64 v[23:24], v[124:125], v[2:3]
	v_mul_f64 v[25:26], v[124:125], v[0:1]
	s_waitcnt lgkmcnt(12)
	v_mul_f64 v[27:28], v[178:179], v[6:7]
	v_mul_f64 v[29:30], v[178:179], v[4:5]
	;; [unrolled: 3-line block ×8, first 2 shown]
	v_fma_f64 v[0:1], v[122:123], v[0:1], v[23:24]
	v_fma_f64 v[2:3], v[122:123], v[2:3], -v[25:26]
	v_fma_f64 v[4:5], v[176:177], v[4:5], v[27:28]
	v_fma_f64 v[6:7], v[176:177], v[6:7], -v[29:30]
	;; [unrolled: 2-line block ×8, first 2 shown]
	v_add_f64 v[0:1], v[72:73], -v[0:1]
	v_add_f64 v[2:3], v[74:75], -v[2:3]
	;; [unrolled: 1-line block ×16, first 2 shown]
	v_fma_f64 v[35:36], v[72:73], 2.0, -v[0:1]
	v_fma_f64 v[37:38], v[74:75], 2.0, -v[2:3]
	;; [unrolled: 1-line block ×16, first 2 shown]
	ds_store_b128 v67, v[35:38]
	ds_store_b128 v66, v[0:3] offset:9248
	ds_store_b128 v67, v[39:42] offset:1088
	;; [unrolled: 1-line block ×15, first 2 shown]
	s_and_saveexec_b32 s0, vcc_lo
	s_cbranch_execz .LBB0_17
; %bb.16:
	scratch_load_b128 v[4:7], off, off offset:436 ; 16-byte Folded Reload
	s_waitcnt vmcnt(0)
	v_mul_f64 v[0:1], v[6:7], v[68:69]
	v_mul_f64 v[2:3], v[6:7], v[70:71]
	s_delay_alu instid0(VALU_DEP_2) | instskip(NEXT) | instid1(VALU_DEP_2)
	v_fma_f64 v[0:1], v[4:5], v[70:71], -v[0:1]
	v_fma_f64 v[4:5], v[4:5], v[68:69], v[2:3]
	s_delay_alu instid0(VALU_DEP_2) | instskip(NEXT) | instid1(VALU_DEP_2)
	v_add_f64 v[2:3], v[102:103], -v[0:1]
	v_add_f64 v[0:1], v[100:101], -v[4:5]
	s_delay_alu instid0(VALU_DEP_2) | instskip(NEXT) | instid1(VALU_DEP_2)
	v_fma_f64 v[6:7], v[102:103], 2.0, -v[2:3]
	v_fma_f64 v[4:5], v[100:101], 2.0, -v[0:1]
	ds_store_b128 v67, v[4:7] offset:8704
	ds_store_b128 v66, v[0:3] offset:17952
.LBB0_17:
	s_or_b32 exec_lo, exec_lo, s0
	s_waitcnt lgkmcnt(0)
	s_barrier
	buffer_gl0_inv
	ds_load_b128 v[0:3], v67
	ds_load_b128 v[4:7], v67 offset:1088
	ds_load_b128 v[8:11], v67 offset:2176
	;; [unrolled: 1-line block ×5, first 2 shown]
	s_clause 0x1
	scratch_load_b128 v[103:106], off, off offset:4
	scratch_load_b32 v100, off, off
	ds_load_b128 v[25:28], v67 offset:6528
	v_mad_u64_u32 v[69:70], null, s6, v20, 0
	s_mov_b32 s0, 0xd10d4986
	s_mov_b32 s1, 0x3f4c5894
	s_mul_i32 s6, s5, 0x440
	s_mul_hi_u32 s8, s4, 0x440
	s_delay_alu instid0(SALU_CYCLE_1)
	s_add_i32 s8, s8, s6
	s_waitcnt vmcnt(1) lgkmcnt(6)
	v_mul_f64 v[71:72], v[105:106], v[2:3]
	v_mul_f64 v[73:74], v[105:106], v[0:1]
	scratch_load_b128 v[105:108], off, off offset:20 ; 16-byte Folded Reload
	s_waitcnt vmcnt(1)
	v_mad_u64_u32 v[79:80], null, s4, v100, 0
	s_mulk_i32 s4, 0x440
	v_mad_u64_u32 v[97:98], null, s7, v20, v[70:71]
	v_fma_f64 v[0:1], v[103:104], v[0:1], v[71:72]
	v_fma_f64 v[2:3], v[103:104], v[2:3], -v[73:74]
	s_delay_alu instid0(VALU_DEP_3) | instskip(NEXT) | instid1(VALU_DEP_1)
	v_mov_b32_e32 v70, v97
	v_lshlrev_b64 v[69:70], 4, v[69:70]
	s_delay_alu instid0(VALU_DEP_4) | instskip(NEXT) | instid1(VALU_DEP_4)
	v_mul_f64 v[0:1], v[0:1], s[0:1]
	v_mul_f64 v[2:3], v[2:3], s[0:1]
	s_waitcnt vmcnt(0) lgkmcnt(5)
	v_mul_f64 v[75:76], v[107:108], v[6:7]
	v_mul_f64 v[77:78], v[107:108], v[4:5]
	scratch_load_b128 v[107:110], off, off offset:36 ; 16-byte Folded Reload
	v_fma_f64 v[4:5], v[105:106], v[4:5], v[75:76]
	v_fma_f64 v[6:7], v[105:106], v[6:7], -v[77:78]
	s_delay_alu instid0(VALU_DEP_2) | instskip(NEXT) | instid1(VALU_DEP_2)
	v_mul_f64 v[4:5], v[4:5], s[0:1]
	v_mul_f64 v[6:7], v[6:7], s[0:1]
	s_waitcnt vmcnt(0) lgkmcnt(4)
	v_mul_f64 v[81:82], v[109:110], v[10:11]
	v_mul_f64 v[83:84], v[109:110], v[8:9]
	scratch_load_b128 v[109:112], off, off offset:52 ; 16-byte Folded Reload
	v_mad_u64_u32 v[98:99], null, s5, v100, v[80:81]
	v_fma_f64 v[8:9], v[107:108], v[8:9], v[81:82]
	v_fma_f64 v[10:11], v[107:108], v[10:11], -v[83:84]
	s_delay_alu instid0(VALU_DEP_3) | instskip(NEXT) | instid1(VALU_DEP_1)
	v_mov_b32_e32 v80, v98
	v_lshlrev_b64 v[79:80], 4, v[79:80]
	s_delay_alu instid0(VALU_DEP_4) | instskip(NEXT) | instid1(VALU_DEP_4)
	v_mul_f64 v[8:9], v[8:9], s[0:1]
	v_mul_f64 v[10:11], v[10:11], s[0:1]
	s_waitcnt vmcnt(0) lgkmcnt(3)
	v_mul_f64 v[85:86], v[111:112], v[14:15]
	v_mul_f64 v[87:88], v[111:112], v[12:13]
	scratch_load_b128 v[111:114], off, off offset:100 ; 16-byte Folded Reload
	v_fma_f64 v[12:13], v[109:110], v[12:13], v[85:86]
	v_fma_f64 v[14:15], v[109:110], v[14:15], -v[87:88]
	s_delay_alu instid0(VALU_DEP_2) | instskip(NEXT) | instid1(VALU_DEP_2)
	v_mul_f64 v[12:13], v[12:13], s[0:1]
	v_mul_f64 v[14:15], v[14:15], s[0:1]
	s_waitcnt vmcnt(0) lgkmcnt(2)
	v_mul_f64 v[89:90], v[113:114], v[18:19]
	v_mul_f64 v[91:92], v[113:114], v[16:17]
	scratch_load_b128 v[113:116], off, off offset:116 ; 16-byte Folded Reload
	ds_load_b128 v[29:32], v67 offset:7616
	ds_load_b128 v[33:36], v67 offset:8704
	;; [unrolled: 1-line block ×10, first 2 shown]
	scratch_load_b128 v[119:122], off, off offset:68 ; 16-byte Folded Reload
	v_fma_f64 v[16:17], v[111:112], v[16:17], v[89:90]
	v_fma_f64 v[18:19], v[111:112], v[18:19], -v[91:92]
	s_delay_alu instid0(VALU_DEP_2) | instskip(NEXT) | instid1(VALU_DEP_2)
	v_mul_f64 v[16:17], v[16:17], s[0:1]
	v_mul_f64 v[18:19], v[18:19], s[0:1]
	s_waitcnt vmcnt(1) lgkmcnt(11)
	v_mul_f64 v[93:94], v[115:116], v[23:24]
	v_mul_f64 v[95:96], v[115:116], v[21:22]
	s_waitcnt vmcnt(0) lgkmcnt(10)
	v_mul_f64 v[99:100], v[121:122], v[27:28]
	v_mul_f64 v[101:102], v[121:122], v[25:26]
	scratch_load_b128 v[121:124], off, off offset:84 ; 16-byte Folded Reload
	v_fma_f64 v[20:21], v[113:114], v[21:22], v[93:94]
	v_fma_f64 v[22:23], v[113:114], v[23:24], -v[95:96]
	v_add_co_u32 v24, vcc_lo, s2, v69
	v_add_co_ci_u32_e32 v70, vcc_lo, s3, v70, vcc_lo
	s_delay_alu instid0(VALU_DEP_2) | instskip(NEXT) | instid1(VALU_DEP_2)
	v_add_co_u32 v69, vcc_lo, v24, v79
	v_add_co_ci_u32_e32 v70, vcc_lo, v70, v80, vcc_lo
	v_fma_f64 v[24:25], v[119:120], v[25:26], v[99:100]
	v_fma_f64 v[26:27], v[119:120], v[27:28], -v[101:102]
	s_delay_alu instid0(VALU_DEP_4) | instskip(NEXT) | instid1(VALU_DEP_4)
	v_add_co_u32 v113, vcc_lo, v69, s4
	v_add_co_ci_u32_e32 v114, vcc_lo, s8, v70, vcc_lo
	s_delay_alu instid0(VALU_DEP_2) | instskip(NEXT) | instid1(VALU_DEP_2)
	v_add_co_u32 v117, vcc_lo, v113, s4
	v_add_co_ci_u32_e32 v118, vcc_lo, s8, v114, vcc_lo
	s_delay_alu instid0(VALU_DEP_2) | instskip(NEXT) | instid1(VALU_DEP_2)
	v_add_co_u32 v99, vcc_lo, v117, s4
	v_add_co_ci_u32_e32 v100, vcc_lo, s8, v118, vcc_lo
	v_mul_f64 v[20:21], v[20:21], s[0:1]
	v_mul_f64 v[22:23], v[22:23], s[0:1]
	s_waitcnt vmcnt(0) lgkmcnt(9)
	v_mul_f64 v[71:72], v[123:124], v[31:32]
	v_mul_f64 v[73:74], v[123:124], v[29:30]
	scratch_load_b128 v[123:126], off, off offset:132 ; 16-byte Folded Reload
	v_fma_f64 v[28:29], v[121:122], v[29:30], v[71:72]
	v_fma_f64 v[30:31], v[121:122], v[31:32], -v[73:74]
	v_add_co_u32 v71, vcc_lo, v99, s4
	v_add_co_ci_u32_e32 v72, vcc_lo, s8, v100, vcc_lo
	s_waitcnt vmcnt(0) lgkmcnt(8)
	v_mul_f64 v[75:76], v[125:126], v[35:36]
	v_mul_f64 v[77:78], v[125:126], v[33:34]
	scratch_load_b128 v[125:128], off, off offset:148 ; 16-byte Folded Reload
	v_fma_f64 v[32:33], v[123:124], v[33:34], v[75:76]
	v_fma_f64 v[34:35], v[123:124], v[35:36], -v[77:78]
	s_waitcnt vmcnt(0) lgkmcnt(7)
	v_mul_f64 v[81:82], v[127:128], v[39:40]
	v_mul_f64 v[83:84], v[127:128], v[37:38]
	scratch_load_b128 v[127:130], off, off offset:164 ; 16-byte Folded Reload
	v_fma_f64 v[36:37], v[125:126], v[37:38], v[81:82]
	v_fma_f64 v[38:39], v[125:126], v[39:40], -v[83:84]
	;; [unrolled: 6-line block ×3, first 2 shown]
	s_waitcnt vmcnt(0) lgkmcnt(5)
	v_mul_f64 v[89:90], v[131:132], v[47:48]
	v_mul_f64 v[91:92], v[131:132], v[45:46]
	scratch_load_b128 v[131:134], off, off offset:196 ; 16-byte Folded Reload
	s_waitcnt vmcnt(0) lgkmcnt(4)
	v_mul_f64 v[93:94], v[133:134], v[51:52]
	v_mul_f64 v[95:96], v[133:134], v[49:50]
	scratch_load_b128 v[133:136], off, off offset:212 ; 16-byte Folded Reload
	;; [unrolled: 4-line block ×5, first 2 shown]
	s_clause 0x1
	global_store_b128 v[69:70], v[0:3], off
	global_store_b128 v[113:114], v[4:7], off
	v_add_co_u32 v4, vcc_lo, v71, s4
	v_add_co_ci_u32_e32 v5, vcc_lo, s8, v72, vcc_lo
	s_clause 0x2
	global_store_b128 v[117:118], v[8:11], off
	global_store_b128 v[99:100], v[12:15], off
	global_store_b128 v[71:72], v[16:19], off
	global_store_b128 v[4:5], v[20:23], off
	v_fma_f64 v[20:21], v[129:130], v[45:46], v[89:90]
	v_fma_f64 v[22:23], v[129:130], v[47:48], -v[91:92]
	v_fma_f64 v[44:45], v[131:132], v[49:50], v[93:94]
	v_fma_f64 v[46:47], v[131:132], v[51:52], -v[95:96]
	;; [unrolled: 2-line block ×4, first 2 shown]
	v_mul_f64 v[0:1], v[24:25], s[0:1]
	v_mul_f64 v[2:3], v[26:27], s[0:1]
	;; [unrolled: 1-line block ×9, first 2 shown]
	v_fma_f64 v[56:57], v[137:138], v[61:62], v[109:110]
	v_fma_f64 v[58:59], v[137:138], v[63:64], -v[111:112]
	v_add_co_u32 v64, vcc_lo, v4, s4
	v_mul_f64 v[20:21], v[20:21], s[0:1]
	v_mul_f64 v[22:23], v[22:23], s[0:1]
	;; [unrolled: 1-line block ×9, first 2 shown]
	s_waitcnt vmcnt(0) lgkmcnt(0)
	v_mul_f64 v[79:80], v[141:142], v[67:68]
	v_mul_f64 v[115:116], v[141:142], v[65:66]
	s_delay_alu instid0(VALU_DEP_2) | instskip(NEXT) | instid1(VALU_DEP_2)
	v_fma_f64 v[60:61], v[139:140], v[65:66], v[79:80]
	v_fma_f64 v[62:63], v[139:140], v[67:68], -v[115:116]
	v_add_co_ci_u32_e32 v65, vcc_lo, s8, v5, vcc_lo
	v_mul_f64 v[4:5], v[28:29], s[0:1]
	v_add_co_u32 v66, vcc_lo, v64, s4
	s_delay_alu instid0(VALU_DEP_3) | instskip(SKIP_1) | instid1(VALU_DEP_3)
	v_add_co_ci_u32_e32 v67, vcc_lo, s8, v65, vcc_lo
	v_mul_f64 v[28:29], v[48:49], s[0:1]
	v_add_co_u32 v68, vcc_lo, v66, s4
	s_delay_alu instid0(VALU_DEP_3) | instskip(SKIP_3) | instid1(VALU_DEP_2)
	v_add_co_ci_u32_e32 v69, vcc_lo, s8, v67, vcc_lo
	global_store_b128 v[64:65], v[0:3], off
	v_add_co_u32 v70, vcc_lo, v68, s4
	v_add_co_ci_u32_e32 v71, vcc_lo, s8, v69, vcc_lo
	v_add_co_u32 v44, vcc_lo, v70, s4
	s_delay_alu instid0(VALU_DEP_2) | instskip(NEXT) | instid1(VALU_DEP_2)
	v_add_co_ci_u32_e32 v45, vcc_lo, s8, v71, vcc_lo
	v_add_co_u32 v0, vcc_lo, v44, s4
	s_delay_alu instid0(VALU_DEP_2) | instskip(NEXT) | instid1(VALU_DEP_2)
	v_add_co_ci_u32_e32 v1, vcc_lo, s8, v45, vcc_lo
	v_add_co_u32 v2, vcc_lo, v0, s4
	s_delay_alu instid0(VALU_DEP_2)
	v_add_co_ci_u32_e32 v3, vcc_lo, s8, v1, vcc_lo
	v_mul_f64 v[40:41], v[60:61], s[0:1]
	v_mul_f64 v[42:43], v[62:63], s[0:1]
	global_store_b128 v[66:67], v[4:7], off
	v_add_co_u32 v4, vcc_lo, v2, s4
	v_add_co_ci_u32_e32 v5, vcc_lo, s8, v3, vcc_lo
	global_store_b128 v[68:69], v[8:11], off
	v_add_co_u32 v6, vcc_lo, v4, s4
	v_add_co_ci_u32_e32 v7, vcc_lo, s8, v5, vcc_lo
	;; [unrolled: 3-line block ×3, first 2 shown]
	global_store_b128 v[44:45], v[16:19], off
	global_store_b128 v[0:1], v[20:23], off
	v_add_co_u32 v0, vcc_lo, v8, s4
	v_add_co_ci_u32_e32 v1, vcc_lo, s8, v9, vcc_lo
	global_store_b128 v[2:3], v[24:27], off
	global_store_b128 v[4:5], v[28:31], off
	;; [unrolled: 1-line block ×5, first 2 shown]
.LBB0_18:
	s_nop 0
	s_sendmsg sendmsg(MSG_DEALLOC_VGPRS)
	s_endpgm
	.section	.rodata,"a",@progbits
	.p2align	6, 0x0
	.amdhsa_kernel bluestein_single_fwd_len1156_dim1_dp_op_CI_CI
		.amdhsa_group_segment_fixed_size 55488
		.amdhsa_private_segment_fixed_size 456
		.amdhsa_kernarg_size 104
		.amdhsa_user_sgpr_count 15
		.amdhsa_user_sgpr_dispatch_ptr 0
		.amdhsa_user_sgpr_queue_ptr 0
		.amdhsa_user_sgpr_kernarg_segment_ptr 1
		.amdhsa_user_sgpr_dispatch_id 0
		.amdhsa_user_sgpr_private_segment_size 0
		.amdhsa_wavefront_size32 1
		.amdhsa_uses_dynamic_stack 0
		.amdhsa_enable_private_segment 1
		.amdhsa_system_sgpr_workgroup_id_x 1
		.amdhsa_system_sgpr_workgroup_id_y 0
		.amdhsa_system_sgpr_workgroup_id_z 0
		.amdhsa_system_sgpr_workgroup_info 0
		.amdhsa_system_vgpr_workitem_id 0
		.amdhsa_next_free_vgpr 256
		.amdhsa_next_free_sgpr 56
		.amdhsa_reserve_vcc 1
		.amdhsa_float_round_mode_32 0
		.amdhsa_float_round_mode_16_64 0
		.amdhsa_float_denorm_mode_32 3
		.amdhsa_float_denorm_mode_16_64 3
		.amdhsa_dx10_clamp 1
		.amdhsa_ieee_mode 1
		.amdhsa_fp16_overflow 0
		.amdhsa_workgroup_processor_mode 1
		.amdhsa_memory_ordered 1
		.amdhsa_forward_progress 0
		.amdhsa_shared_vgpr_count 0
		.amdhsa_exception_fp_ieee_invalid_op 0
		.amdhsa_exception_fp_denorm_src 0
		.amdhsa_exception_fp_ieee_div_zero 0
		.amdhsa_exception_fp_ieee_overflow 0
		.amdhsa_exception_fp_ieee_underflow 0
		.amdhsa_exception_fp_ieee_inexact 0
		.amdhsa_exception_int_div_zero 0
	.end_amdhsa_kernel
	.text
.Lfunc_end0:
	.size	bluestein_single_fwd_len1156_dim1_dp_op_CI_CI, .Lfunc_end0-bluestein_single_fwd_len1156_dim1_dp_op_CI_CI
                                        ; -- End function
	.section	.AMDGPU.csdata,"",@progbits
; Kernel info:
; codeLenInByte = 39452
; NumSgprs: 58
; NumVgprs: 256
; ScratchSize: 456
; MemoryBound: 0
; FloatMode: 240
; IeeeMode: 1
; LDSByteSize: 55488 bytes/workgroup (compile time only)
; SGPRBlocks: 7
; VGPRBlocks: 31
; NumSGPRsForWavesPerEU: 58
; NumVGPRsForWavesPerEU: 256
; Occupancy: 4
; WaveLimiterHint : 1
; COMPUTE_PGM_RSRC2:SCRATCH_EN: 1
; COMPUTE_PGM_RSRC2:USER_SGPR: 15
; COMPUTE_PGM_RSRC2:TRAP_HANDLER: 0
; COMPUTE_PGM_RSRC2:TGID_X_EN: 1
; COMPUTE_PGM_RSRC2:TGID_Y_EN: 0
; COMPUTE_PGM_RSRC2:TGID_Z_EN: 0
; COMPUTE_PGM_RSRC2:TIDIG_COMP_CNT: 0
	.text
	.p2alignl 7, 3214868480
	.fill 96, 4, 3214868480
	.type	__hip_cuid_8bc19c13c879fe43,@object ; @__hip_cuid_8bc19c13c879fe43
	.section	.bss,"aw",@nobits
	.globl	__hip_cuid_8bc19c13c879fe43
__hip_cuid_8bc19c13c879fe43:
	.byte	0                               ; 0x0
	.size	__hip_cuid_8bc19c13c879fe43, 1

	.ident	"AMD clang version 19.0.0git (https://github.com/RadeonOpenCompute/llvm-project roc-6.4.0 25133 c7fe45cf4b819c5991fe208aaa96edf142730f1d)"
	.section	".note.GNU-stack","",@progbits
	.addrsig
	.addrsig_sym __hip_cuid_8bc19c13c879fe43
	.amdgpu_metadata
---
amdhsa.kernels:
  - .args:
      - .actual_access:  read_only
        .address_space:  global
        .offset:         0
        .size:           8
        .value_kind:     global_buffer
      - .actual_access:  read_only
        .address_space:  global
        .offset:         8
        .size:           8
        .value_kind:     global_buffer
      - .actual_access:  read_only
        .address_space:  global
        .offset:         16
        .size:           8
        .value_kind:     global_buffer
      - .actual_access:  read_only
        .address_space:  global
        .offset:         24
        .size:           8
        .value_kind:     global_buffer
      - .actual_access:  read_only
        .address_space:  global
        .offset:         32
        .size:           8
        .value_kind:     global_buffer
      - .offset:         40
        .size:           8
        .value_kind:     by_value
      - .address_space:  global
        .offset:         48
        .size:           8
        .value_kind:     global_buffer
      - .address_space:  global
        .offset:         56
        .size:           8
        .value_kind:     global_buffer
      - .address_space:  global
        .offset:         64
        .size:           8
        .value_kind:     global_buffer
      - .address_space:  global
        .offset:         72
        .size:           8
        .value_kind:     global_buffer
      - .offset:         80
        .size:           4
        .value_kind:     by_value
      - .address_space:  global
        .offset:         88
        .size:           8
        .value_kind:     global_buffer
      - .address_space:  global
        .offset:         96
        .size:           8
        .value_kind:     global_buffer
    .group_segment_fixed_size: 55488
    .kernarg_segment_align: 8
    .kernarg_segment_size: 104
    .language:       OpenCL C
    .language_version:
      - 2
      - 0
    .max_flat_workgroup_size: 204
    .name:           bluestein_single_fwd_len1156_dim1_dp_op_CI_CI
    .private_segment_fixed_size: 456
    .sgpr_count:     58
    .sgpr_spill_count: 0
    .symbol:         bluestein_single_fwd_len1156_dim1_dp_op_CI_CI.kd
    .uniform_work_group_size: 1
    .uses_dynamic_stack: false
    .vgpr_count:     256
    .vgpr_spill_count: 132
    .wavefront_size: 32
    .workgroup_processor_mode: 1
amdhsa.target:   amdgcn-amd-amdhsa--gfx1100
amdhsa.version:
  - 1
  - 2
...

	.end_amdgpu_metadata
